;; amdgpu-corpus repo=ROCm/rocFFT kind=compiled arch=gfx950 opt=O3
	.text
	.amdgcn_target "amdgcn-amd-amdhsa--gfx950"
	.amdhsa_code_object_version 6
	.protected	bluestein_single_back_len136_dim1_dp_op_CI_CI ; -- Begin function bluestein_single_back_len136_dim1_dp_op_CI_CI
	.globl	bluestein_single_back_len136_dim1_dp_op_CI_CI
	.p2align	8
	.type	bluestein_single_back_len136_dim1_dp_op_CI_CI,@function
bluestein_single_back_len136_dim1_dp_op_CI_CI: ; @bluestein_single_back_len136_dim1_dp_op_CI_CI
; %bb.0:
	s_load_dwordx4 s[8:11], s[0:1], 0x28
	v_mul_u32_u24_e32 v1, 0xf10, v0
	v_lshrrev_b32_e32 v2, 16, v1
	v_mad_u64_u32 v[148:149], s[2:3], s2, 7, v[2:3]
	v_mov_b32_e32 v149, 0
	s_waitcnt lgkmcnt(0)
	v_cmp_gt_u64_e32 vcc, s[8:9], v[148:149]
	s_and_saveexec_b64 s[2:3], vcc
	s_cbranch_execz .LBB0_15
; %bb.1:
	v_mul_lo_u16_e32 v1, 17, v2
	s_mov_b32 s2, 0x24924925
	v_sub_u16_e32 v236, v0, v1
	v_mul_hi_u32 v0, v148, s2
	v_sub_u32_e32 v1, v148, v0
	v_lshrrev_b32_e32 v1, 1, v1
	v_add_u32_e32 v0, v1, v0
	v_lshrrev_b32_e32 v0, 2, v0
	v_mul_lo_u32 v0, v0, 7
	v_sub_u32_e32 v0, v148, v0
	v_mul_u32_u24_e32 v237, 0x88, v0
	v_or_b32_e32 v0, v237, v236
	v_lshlrev_b32_e32 v0, 4, v0
	v_accvgpr_write_b32 a9, v0
	v_or_b32_e32 v0, 8, v236
	v_accvgpr_write_b32 a8, v0
	v_or_b32_e32 v0, 16, v236
	;; [unrolled: 2-line block ×4, first 2 shown]
	s_load_dwordx2 s[8:9], s[0:1], 0x0
	s_load_dwordx2 s[12:13], s[0:1], 0x38
	v_accvgpr_write_b32 a5, v0
	v_or_b32_e32 v0, 40, v236
	v_accvgpr_write_b32 a4, v0
	v_or_b32_e32 v0, 48, v236
	;; [unrolled: 2-line block ×4, first 2 shown]
	v_cmp_gt_u16_e32 vcc, 8, v236
	v_lshlrev_b32_e32 v149, 4, v236
	v_accvgpr_write_b32 a1, v0
	s_and_saveexec_b64 s[2:3], vcc
	s_cbranch_execz .LBB0_3
; %bb.2:
	s_load_dwordx2 s[4:5], s[0:1], 0x18
	v_mov_b32_e32 v0, s10
	v_mov_b32_e32 v1, s11
	v_accvgpr_read_b32 v55, a8
	v_accvgpr_read_b32 v63, a4
	s_waitcnt lgkmcnt(0)
	s_load_dwordx4 s[4:7], s[4:5], 0x0
	v_accvgpr_read_b32 v57, a7
	v_accvgpr_read_b32 v59, a6
	;; [unrolled: 1-line block ×4, first 2 shown]
	s_waitcnt lgkmcnt(0)
	v_mad_u64_u32 v[2:3], s[10:11], s6, v148, 0
	v_mad_u64_u32 v[4:5], s[10:11], s4, v236, 0
	v_mov_b32_e32 v6, v3
	v_mov_b32_e32 v8, v5
	v_mad_u64_u32 v[6:7], s[6:7], s7, v148, v[6:7]
	v_mov_b32_e32 v3, v6
	v_mad_u64_u32 v[6:7], s[6:7], s5, v236, v[8:9]
	v_mov_b32_e32 v5, v6
	v_lshl_add_u64 v[82:83], v[2:3], 4, v[0:1]
	v_lshl_add_u64 v[36:37], v[4:5], 4, v[82:83]
	global_load_dwordx4 v[0:3], v[36:37], off
	global_load_dwordx4 v[4:7], v149, s[8:9]
	global_load_dwordx4 v[8:11], v149, s[8:9] offset:128
	global_load_dwordx4 v[12:15], v149, s[8:9] offset:256
	;; [unrolled: 1-line block ×7, first 2 shown]
	v_mad_u64_u32 v[36:37], s[6:7], s4, v55, 0
	v_mad_u64_u32 v[44:45], s[6:7], s4, v63, 0
	v_accvgpr_read_b32 v67, a2
	v_accvgpr_read_b32 v69, a1
	v_mad_u64_u32 v[38:39], s[6:7], s4, v57, 0
	v_mad_u64_u32 v[40:41], s[6:7], s4, v59, 0
	;; [unrolled: 1-line block ×6, first 2 shown]
	v_mov_b32_e32 v54, v37
	v_mov_b32_e32 v62, v45
	v_or_b32_e32 v85, 0x48, v236
	v_mov_b32_e32 v56, v39
	v_mov_b32_e32 v58, v41
	;; [unrolled: 1-line block ×6, first 2 shown]
	v_mad_u64_u32 v[54:55], s[6:7], s5, v55, v[54:55]
	v_mad_u64_u32 v[62:63], s[6:7], s5, v63, v[62:63]
	v_mad_u64_u32 v[52:53], s[6:7], s4, v85, 0
	v_mad_u64_u32 v[56:57], s[6:7], s5, v57, v[56:57]
	v_mad_u64_u32 v[58:59], s[6:7], s5, v59, v[58:59]
	v_mad_u64_u32 v[60:61], s[6:7], s5, v61, v[60:61]
	v_mad_u64_u32 v[64:65], s[6:7], s5, v65, v[64:65]
	v_mad_u64_u32 v[66:67], s[6:7], s5, v67, v[66:67]
	v_mad_u64_u32 v[68:69], s[6:7], s5, v69, v[68:69]
	v_mov_b32_e32 v37, v54
	v_mov_b32_e32 v45, v62
	;; [unrolled: 1-line block ×9, first 2 shown]
	v_lshl_add_u64 v[54:55], v[36:37], 4, v[82:83]
	v_lshl_add_u64 v[44:45], v[44:45], 4, v[82:83]
	;; [unrolled: 1-line block ×8, first 2 shown]
	global_load_dwordx4 v[76:79], v[54:55], off
	global_load_dwordx4 v[72:75], v[56:57], off
	;; [unrolled: 1-line block ×7, first 2 shown]
	v_mad_u64_u32 v[44:45], s[6:7], s5, v85, v[84:85]
	v_mov_b32_e32 v53, v44
	v_lshl_add_u64 v[84:85], v[52:53], 4, v[82:83]
	global_load_dwordx4 v[52:55], v[86:87], off
	global_load_dwordx4 v[44:47], v[84:85], off
	global_load_dwordx4 v[56:59], v149, s[8:9] offset:1024
	global_load_dwordx4 v[64:67], v149, s[8:9] offset:1152
	v_or_b32_e32 v87, 0x50, v236
	v_mad_u64_u32 v[84:85], s[6:7], s4, v87, 0
	v_mov_b32_e32 v86, v85
	v_mad_u64_u32 v[86:87], s[6:7], s5, v87, v[86:87]
	v_mov_b32_e32 v85, v86
	v_or_b32_e32 v87, 0x58, v236
	v_lshl_add_u64 v[102:103], v[84:85], 4, v[82:83]
	v_mad_u64_u32 v[84:85], s[6:7], s4, v87, 0
	v_mov_b32_e32 v86, v85
	v_mad_u64_u32 v[86:87], s[6:7], s5, v87, v[86:87]
	v_mov_b32_e32 v85, v86
	v_or_b32_e32 v101, 0x60, v236
	v_lshl_add_u64 v[104:105], v[84:85], 4, v[82:83]
	global_load_dwordx4 v[88:91], v[102:103], off
	global_load_dwordx4 v[84:87], v[104:105], off
	global_load_dwordx4 v[92:95], v149, s[8:9] offset:1280
	global_load_dwordx4 v[96:99], v149, s[8:9] offset:1408
	v_mad_u64_u32 v[102:103], s[6:7], s4, v101, 0
	v_mov_b32_e32 v104, v103
	v_mad_u64_u32 v[104:105], s[6:7], s5, v101, v[104:105]
	v_mov_b32_e32 v103, v104
	v_or_b32_e32 v101, 0x68, v236
	v_lshl_add_u64 v[110:111], v[102:103], 4, v[82:83]
	v_mad_u64_u32 v[102:103], s[6:7], s4, v101, 0
	v_mov_b32_e32 v104, v103
	v_mad_u64_u32 v[104:105], s[6:7], s5, v101, v[104:105]
	v_or_b32_e32 v101, 0x70, v236
	v_mad_u64_u32 v[118:119], s[6:7], s4, v101, 0
	v_mov_b32_e32 v120, v119
	v_mov_b32_e32 v103, v104
	v_mad_u64_u32 v[120:121], s[6:7], s5, v101, v[120:121]
	v_or_b32_e32 v101, 0x78, v236
	v_lshl_add_u64 v[112:113], v[102:103], 4, v[82:83]
	v_mov_b32_e32 v119, v120
	v_mad_u64_u32 v[120:121], s[6:7], s4, v101, 0
	global_load_dwordx4 v[102:105], v[110:111], off
	global_load_dwordx4 v[106:109], v[112:113], off
                                        ; kill: killed $vgpr112_vgpr113
                                        ; kill: killed $vgpr110_vgpr111
	s_nop 0
	global_load_dwordx4 v[110:113], v149, s[8:9] offset:1536
	global_load_dwordx4 v[114:117], v149, s[8:9] offset:1664
	v_mov_b32_e32 v122, v121
	v_mad_u64_u32 v[122:123], s[6:7], s5, v101, v[122:123]
	v_or_b32_e32 v101, 0x80, v236
	v_mov_b32_e32 v121, v122
	v_mad_u64_u32 v[134:135], s[6:7], s4, v101, 0
	v_lshl_add_u64 v[118:119], v[118:119], 4, v[82:83]
	v_lshl_add_u64 v[122:123], v[120:121], 4, v[82:83]
	v_mov_b32_e32 v136, v135
	global_load_dwordx4 v[118:121], v[118:119], off
	s_nop 0
	global_load_dwordx4 v[122:125], v[122:123], off
	s_nop 0
	global_load_dwordx4 v[126:129], v149, s[8:9] offset:1792
	global_load_dwordx4 v[130:133], v149, s[8:9] offset:1920
	v_mad_u64_u32 v[136:137], s[4:5], s5, v101, v[136:137]
	v_mov_b32_e32 v135, v136
	v_lshl_add_u64 v[82:83], v[134:135], 4, v[82:83]
	global_load_dwordx4 v[134:137], v[82:83], off
	global_load_dwordx4 v[138:141], v149, s[8:9] offset:2048
	s_waitcnt vmcnt(32)
	v_mul_f64 v[80:81], v[2:3], v[6:7]
	v_mul_f64 v[82:83], v[0:1], v[6:7]
	v_fma_f64 v[82:83], v[2:3], v[4:5], -v[82:83]
	v_fmac_f64_e32 v[80:81], v[0:1], v[4:5]
	v_lshl_add_u32 v100, v237, 4, v149
	s_waitcnt vmcnt(24)
	v_mul_f64 v[6:7], v[78:79], v[10:11]
	v_mul_f64 v[2:3], v[76:77], v[10:11]
	s_waitcnt vmcnt(23)
	v_mul_f64 v[0:1], v[74:75], v[14:15]
	v_mul_f64 v[4:5], v[72:73], v[14:15]
	v_fmac_f64_e32 v[6:7], v[76:77], v[8:9]
	v_fma_f64 v[8:9], v[78:79], v[8:9], -v[2:3]
	v_fmac_f64_e32 v[0:1], v[72:73], v[12:13]
	v_fma_f64 v[2:3], v[74:75], v[12:13], -v[4:5]
	v_accvgpr_read_b32 v4, a9
	ds_write_b128 v4, v[80:83]
	ds_write_b128 v100, v[6:9] offset:128
	ds_write_b128 v100, v[0:3] offset:256
	s_waitcnt vmcnt(22)
	v_mul_f64 v[0:1], v[70:71], v[18:19]
	v_mul_f64 v[2:3], v[68:69], v[18:19]
	v_fmac_f64_e32 v[0:1], v[68:69], v[16:17]
	v_fma_f64 v[2:3], v[70:71], v[16:17], -v[2:3]
	ds_write_b128 v100, v[0:3] offset:384
	s_waitcnt vmcnt(21)
	v_mul_f64 v[0:1], v[62:63], v[22:23]
	v_mul_f64 v[2:3], v[60:61], v[22:23]
	v_fmac_f64_e32 v[0:1], v[60:61], v[20:21]
	v_fma_f64 v[2:3], v[62:63], v[20:21], -v[2:3]
	;; [unrolled: 6-line block ×5, first 2 shown]
	ds_write_b128 v100, v[0:3] offset:896
	s_waitcnt vmcnt(15)
	v_mul_f64 v[0:1], v[52:53], v[58:59]
	v_fma_f64 v[2:3], v[54:55], v[56:57], -v[0:1]
	v_mul_f64 v[0:1], v[54:55], v[58:59]
	v_fmac_f64_e32 v[0:1], v[52:53], v[56:57]
	ds_write_b128 v100, v[0:3] offset:1024
	s_waitcnt vmcnt(14)
	v_mul_f64 v[0:1], v[46:47], v[66:67]
	v_mul_f64 v[2:3], v[44:45], v[66:67]
	v_fmac_f64_e32 v[0:1], v[44:45], v[64:65]
	v_fma_f64 v[2:3], v[46:47], v[64:65], -v[2:3]
	ds_write_b128 v100, v[0:3] offset:1152
	s_waitcnt vmcnt(11)
	v_mul_f64 v[0:1], v[90:91], v[94:95]
	v_mul_f64 v[2:3], v[88:89], v[94:95]
	v_fmac_f64_e32 v[0:1], v[88:89], v[92:93]
	v_fma_f64 v[2:3], v[90:91], v[92:93], -v[2:3]
	;; [unrolled: 6-line block ×8, first 2 shown]
	ds_write_b128 v100, v[0:3] offset:2048
.LBB0_3:
	s_or_b64 exec, exec, s[2:3]
	s_load_dwordx2 s[2:3], s[0:1], 0x20
	s_load_dwordx2 s[4:5], s[0:1], 0x8
	v_lshlrev_b32_e32 v0, 4, v237
	v_accvgpr_write_b32 a10, v0
	s_waitcnt lgkmcnt(0)
	s_barrier
	s_waitcnt lgkmcnt(0)
                                        ; implicit-def: $vgpr42_vgpr43
                                        ; implicit-def: $vgpr30_vgpr31
                                        ; implicit-def: $vgpr26_vgpr27
                                        ; implicit-def: $vgpr52_vgpr53
                                        ; implicit-def: $vgpr60_vgpr61
                                        ; implicit-def: $vgpr64_vgpr65
                                        ; implicit-def: $vgpr68_vgpr69
                                        ; implicit-def: $vgpr72_vgpr73
                                        ; implicit-def: $vgpr76_vgpr77
                                        ; implicit-def: $vgpr80_vgpr81
                                        ; implicit-def: $vgpr88_vgpr89
                                        ; implicit-def: $vgpr92_vgpr93
                                        ; implicit-def: $vgpr96_vgpr97
                                        ; implicit-def: $vgpr56_vgpr57
                                        ; implicit-def: $vgpr48_vgpr49
                                        ; implicit-def: $vgpr44_vgpr45
                                        ; implicit-def: $vgpr36_vgpr37
	s_and_saveexec_b64 s[0:1], vcc
	s_cbranch_execz .LBB0_5
; %bb.4:
	v_accvgpr_read_b32 v0, a9
	ds_read_b128 v[24:27], v0
	v_accvgpr_read_b32 v0, a10
	v_lshl_add_u32 v0, v236, 4, v0
	ds_read_b128 v[36:39], v0 offset:128
	ds_read_b128 v[28:31], v0 offset:256
	;; [unrolled: 1-line block ×16, first 2 shown]
.LBB0_5:
	s_or_b64 exec, exec, s[0:1]
	s_mov_b32 s38, 0x5d8e7cdc
	s_waitcnt lgkmcnt(0)
	v_add_f64 v[4:5], v[38:39], -v[98:99]
	s_mov_b32 s39, 0xbfd71e95
	s_mov_b32 s46, 0x2a9d6da3
	;; [unrolled: 1-line block ×3, first 2 shown]
	v_mul_f64 v[0:1], v[4:5], s[38:39]
	s_mov_b32 s47, 0xbfe58eea
	v_add_f64 v[106:107], v[30:31], -v[94:95]
	v_add_f64 v[130:131], v[96:97], v[36:37]
	v_add_f64 v[2:3], v[36:37], -v[96:97]
	s_mov_b32 s1, 0x3fedd6d0
	v_accvgpr_write_b32 a17, v1
	s_mov_b32 s18, 0x75d4884
	v_mul_f64 v[108:109], v[106:107], s[46:47]
	v_add_f64 v[132:133], v[98:99], v[38:39]
	v_mul_f64 v[8:9], v[2:3], s[38:39]
	v_accvgpr_write_b32 a16, v0
	v_fma_f64 v[0:1], s[0:1], v[130:131], v[0:1]
	s_mov_b32 s19, 0x3fe7a5f6
	v_add_f64 v[146:147], v[28:29], v[92:93]
	v_add_f64 v[104:105], v[28:29], -v[92:93]
	v_accvgpr_write_b32 a30, v108
	v_add_f64 v[6:7], v[24:25], v[0:1]
	v_accvgpr_write_b32 a19, v9
	v_fma_f64 v[0:1], v[132:133], s[0:1], -v[8:9]
	s_mov_b32 s40, 0xeb564b22
	v_add_f64 v[150:151], v[30:31], v[94:95]
	v_mul_f64 v[110:111], v[104:105], s[46:47]
	v_accvgpr_write_b32 a31, v109
	v_fma_f64 v[108:109], s[18:19], v[146:147], v[108:109]
	v_accvgpr_write_b32 a18, v8
	v_add_f64 v[0:1], v[26:27], v[0:1]
	v_mul_f64 v[8:9], v[4:5], s[46:47]
	s_mov_b32 s41, 0xbfefdd0d
	v_add_f64 v[6:7], v[108:109], v[6:7]
	v_fma_f64 v[108:109], v[150:151], s[18:19], -v[110:111]
	v_mul_f64 v[10:11], v[2:3], s[46:47]
	v_accvgpr_write_b32 a21, v9
	s_mov_b32 s14, 0x3259b75e
	v_add_f64 v[0:1], v[108:109], v[0:1]
	v_mul_f64 v[108:109], v[106:107], s[40:41]
	v_accvgpr_write_b32 a20, v8
	v_fma_f64 v[8:9], s[18:19], v[130:131], v[8:9]
	v_accvgpr_write_b32 a23, v11
	s_mov_b32 s34, 0x7c9e640b
	s_mov_b32 s15, 0x3fb79ee6
	v_accvgpr_write_b32 a32, v110
	v_accvgpr_write_b32 a36, v108
	v_add_f64 v[8:9], v[24:25], v[8:9]
	v_accvgpr_write_b32 a22, v10
	v_fma_f64 v[10:11], v[132:133], s[18:19], -v[10:11]
	s_mov_b32 s35, 0xbfeca52d
	s_mov_b32 s26, 0x6c9a05f6
	v_accvgpr_write_b32 a33, v111
	v_mul_f64 v[110:111], v[104:105], s[40:41]
	v_accvgpr_write_b32 a37, v109
	v_fma_f64 v[108:109], s[14:15], v[146:147], v[108:109]
	v_add_f64 v[10:11], v[26:27], v[10:11]
	s_mov_b32 s6, 0x2b2883cd
	v_mul_f64 v[12:13], v[4:5], s[34:35]
	s_mov_b32 s27, 0xbfe9895b
	v_add_f64 v[8:9], v[108:109], v[8:9]
	v_fma_f64 v[108:109], v[150:151], s[14:15], -v[110:111]
	s_mov_b32 s7, 0x3fdc86fa
	v_mul_f64 v[14:15], v[2:3], s[34:35]
	v_accvgpr_write_b32 a25, v13
	s_mov_b32 s16, 0x6ed5f1bb
	v_add_f64 v[10:11], v[108:109], v[10:11]
	v_mul_f64 v[108:109], v[106:107], s[26:27]
	v_accvgpr_write_b32 a24, v12
	v_fma_f64 v[12:13], s[6:7], v[130:131], v[12:13]
	v_accvgpr_write_b32 a27, v15
	s_mov_b32 s17, 0xbfe348c8
	v_accvgpr_write_b32 a40, v110
	v_accvgpr_write_b32 a48, v108
	v_add_f64 v[12:13], v[24:25], v[12:13]
	v_accvgpr_write_b32 a26, v14
	v_fma_f64 v[14:15], v[132:133], s[6:7], -v[14:15]
	s_mov_b32 s36, 0xacd6c6b4
	v_accvgpr_write_b32 a41, v111
	v_mul_f64 v[110:111], v[104:105], s[26:27]
	v_accvgpr_write_b32 a49, v109
	v_fma_f64 v[108:109], s[16:17], v[146:147], v[108:109]
	v_add_f64 v[14:15], v[26:27], v[14:15]
	v_mul_f64 v[16:17], v[4:5], s[40:41]
	s_mov_b32 s37, 0xbfc7851a
	v_add_f64 v[12:13], v[108:109], v[12:13]
	v_fma_f64 v[108:109], v[150:151], s[16:17], -v[110:111]
	v_mul_f64 v[18:19], v[2:3], s[40:41]
	v_accvgpr_write_b32 a29, v17
	s_mov_b32 s22, 0x7faef3
	v_add_f64 v[14:15], v[108:109], v[14:15]
	v_mul_f64 v[108:109], v[106:107], s[36:37]
	v_accvgpr_write_b32 a28, v16
	v_fma_f64 v[16:17], s[14:15], v[130:131], v[16:17]
	v_accvgpr_write_b32 a35, v19
	s_mov_b32 s24, 0x923c349f
	s_mov_b32 s23, 0xbfef7484
	v_accvgpr_write_b32 a54, v110
	v_accvgpr_write_b32 a62, v108
	v_add_f64 v[16:17], v[24:25], v[16:17]
	v_accvgpr_write_b32 a34, v18
	v_fma_f64 v[18:19], v[132:133], s[14:15], -v[18:19]
	s_mov_b32 s25, 0xbfeec746
	s_mov_b32 s30, 0x4363dd80
	v_accvgpr_write_b32 a55, v111
	v_mul_f64 v[110:111], v[104:105], s[36:37]
	v_accvgpr_write_b32 a63, v109
	v_fma_f64 v[108:109], s[22:23], v[146:147], v[108:109]
	v_add_f64 v[18:19], v[26:27], v[18:19]
	s_mov_b32 s10, 0xc61f0d01
	v_mul_f64 v[20:21], v[4:5], s[24:25]
	s_mov_b32 s31, 0xbfe0d888
	v_add_f64 v[16:17], v[108:109], v[16:17]
	v_fma_f64 v[108:109], v[150:151], s[22:23], -v[110:111]
	s_mov_b32 s51, 0x3fe0d888
	s_mov_b32 s50, s30
	;; [unrolled: 1-line block ×3, first 2 shown]
	v_mul_f64 v[22:23], v[2:3], s[24:25]
	v_accvgpr_write_b32 a39, v21
	s_mov_b32 s20, 0x910ea3b9
	v_add_f64 v[18:19], v[108:109], v[18:19]
	v_mul_f64 v[108:109], v[106:107], s[50:51]
	v_accvgpr_write_b32 a38, v20
	v_fma_f64 v[20:21], s[10:11], v[130:131], v[20:21]
	v_accvgpr_write_b32 a43, v23
	s_mov_b32 s21, 0xbfeb34fa
	v_accvgpr_write_b32 a66, v110
	v_accvgpr_write_b32 a68, v108
	v_add_f64 v[20:21], v[24:25], v[20:21]
	v_accvgpr_write_b32 a42, v22
	v_fma_f64 v[22:23], v[132:133], s[10:11], -v[22:23]
	v_accvgpr_write_b32 a67, v111
	v_mul_f64 v[110:111], v[104:105], s[50:51]
	v_accvgpr_write_b32 a69, v109
	v_fma_f64 v[108:109], s[20:21], v[146:147], v[108:109]
	v_add_f64 v[22:23], v[26:27], v[22:23]
	v_mul_f64 v[32:33], v[4:5], s[26:27]
	v_add_f64 v[20:21], v[108:109], v[20:21]
	v_fma_f64 v[108:109], v[150:151], s[20:21], -v[110:111]
	s_mov_b32 s49, 0x3feec746
	s_mov_b32 s48, s24
	v_mul_f64 v[34:35], v[2:3], s[26:27]
	v_accvgpr_write_b32 a45, v33
	v_add_f64 v[22:23], v[108:109], v[22:23]
	v_mul_f64 v[108:109], v[106:107], s[48:49]
	v_accvgpr_write_b32 a44, v32
	v_fma_f64 v[32:33], s[16:17], v[130:131], v[32:33]
	v_accvgpr_write_b32 a47, v35
	v_accvgpr_write_b32 a70, v110
	;; [unrolled: 1-line block ×3, first 2 shown]
	v_add_f64 v[32:33], v[24:25], v[32:33]
	v_accvgpr_write_b32 a46, v34
	v_fma_f64 v[34:35], v[132:133], s[16:17], -v[34:35]
	v_accvgpr_write_b32 a71, v111
	v_mul_f64 v[110:111], v[104:105], s[48:49]
	v_accvgpr_write_b32 a77, v109
	v_fma_f64 v[108:109], s[10:11], v[146:147], v[108:109]
	v_add_f64 v[34:35], v[26:27], v[34:35]
	v_mul_f64 v[84:85], v[4:5], s[30:31]
	v_add_f64 v[32:33], v[108:109], v[32:33]
	v_fma_f64 v[108:109], v[150:151], s[10:11], -v[110:111]
	s_mov_b32 s29, 0x3feca52d
	s_mov_b32 s28, s34
	v_mul_f64 v[86:87], v[2:3], s[30:31]
	v_accvgpr_write_b32 a52, v84
	v_add_f64 v[34:35], v[108:109], v[34:35]
	v_mul_f64 v[108:109], v[106:107], s[28:29]
	v_accvgpr_write_b32 a53, v85
	v_fma_f64 v[84:85], s[20:21], v[130:131], v[84:85]
	v_accvgpr_write_b32 a58, v86
	v_accvgpr_write_b32 a82, v110
	;; [unrolled: 1-line block ×3, first 2 shown]
	v_add_f64 v[84:85], v[24:25], v[84:85]
	v_accvgpr_write_b32 a59, v87
	v_fma_f64 v[86:87], v[132:133], s[20:21], -v[86:87]
	v_mul_f64 v[4:5], v[4:5], s[36:37]
	v_accvgpr_write_b32 a83, v111
	v_mul_f64 v[110:111], v[104:105], s[28:29]
	v_accvgpr_write_b32 a91, v109
	v_fma_f64 v[108:109], s[6:7], v[146:147], v[108:109]
	s_mov_b32 s45, 0x3fd71e95
	s_mov_b32 s44, s38
	v_add_f64 v[86:87], v[26:27], v[86:87]
	v_fma_f64 v[100:101], v[130:131], s[22:23], -v[4:5]
	v_mul_f64 v[2:3], v[2:3], s[36:37]
	v_fmac_f64_e32 v[4:5], s[22:23], v[130:131]
	v_add_f64 v[84:85], v[108:109], v[84:85]
	v_fma_f64 v[108:109], v[150:151], s[6:7], -v[110:111]
	v_mul_f64 v[106:107], v[106:107], s[44:45]
	v_add_f64 v[100:101], v[24:25], v[100:101]
	v_fma_f64 v[102:103], s[22:23], v[132:133], v[2:3]
	v_add_f64 v[4:5], v[24:25], v[4:5]
	v_add_f64 v[86:87], v[108:109], v[86:87]
	v_fma_f64 v[108:109], v[146:147], s[0:1], -v[106:107]
	v_mul_f64 v[104:105], v[104:105], s[44:45]
	v_fmac_f64_e32 v[106:107], s[0:1], v[146:147]
	v_add_f64 v[102:103], v[26:27], v[102:103]
	v_fma_f64 v[2:3], v[132:133], s[22:23], -v[2:3]
	v_add_f64 v[100:101], v[108:109], v[100:101]
	v_fma_f64 v[108:109], s[0:1], v[150:151], v[104:105]
	v_add_f64 v[4:5], v[106:107], v[4:5]
	v_add_f64 v[106:107], v[46:47], -v[90:91]
	v_add_f64 v[2:3], v[26:27], v[2:3]
	v_add_f64 v[102:103], v[108:109], v[102:103]
	v_fma_f64 v[104:105], v[150:151], s[0:1], -v[104:105]
	v_mul_f64 v[108:109], v[106:107], s[34:35]
	v_accvgpr_write_b32 a94, v110
	v_add_f64 v[2:3], v[104:105], v[2:3]
	v_add_f64 v[168:169], v[88:89], v[44:45]
	v_add_f64 v[104:105], v[44:45], -v[88:89]
	v_accvgpr_write_b32 a50, v108
	v_accvgpr_write_b32 a95, v111
	v_add_f64 v[170:171], v[90:91], v[46:47]
	v_mul_f64 v[110:111], v[104:105], s[34:35]
	v_accvgpr_write_b32 a51, v109
	v_fma_f64 v[108:109], s[6:7], v[168:169], v[108:109]
	v_add_f64 v[6:7], v[108:109], v[6:7]
	v_fma_f64 v[108:109], v[170:171], s[6:7], -v[110:111]
	v_add_f64 v[0:1], v[108:109], v[0:1]
	v_mul_f64 v[108:109], v[106:107], s[26:27]
	v_accvgpr_write_b32 a56, v110
	v_accvgpr_write_b32 a60, v108
	;; [unrolled: 1-line block ×3, first 2 shown]
	v_mul_f64 v[110:111], v[104:105], s[26:27]
	v_accvgpr_write_b32 a61, v109
	v_fma_f64 v[108:109], s[16:17], v[168:169], v[108:109]
	v_add_f64 v[8:9], v[108:109], v[8:9]
	v_fma_f64 v[108:109], v[170:171], s[16:17], -v[110:111]
	s_mov_b32 s43, 0x3fc7851a
	s_mov_b32 s42, s36
	v_add_f64 v[10:11], v[108:109], v[10:11]
	v_mul_f64 v[108:109], v[106:107], s[42:43]
	v_accvgpr_write_b32 a64, v110
	v_accvgpr_write_b32 a72, v108
	;; [unrolled: 1-line block ×3, first 2 shown]
	v_mul_f64 v[110:111], v[104:105], s[42:43]
	v_accvgpr_write_b32 a73, v109
	v_fma_f64 v[108:109], s[22:23], v[168:169], v[108:109]
	v_add_f64 v[12:13], v[108:109], v[12:13]
	v_fma_f64 v[108:109], v[170:171], s[22:23], -v[110:111]
	v_add_f64 v[14:15], v[108:109], v[14:15]
	v_mul_f64 v[108:109], v[106:107], s[48:49]
	v_accvgpr_write_b32 a80, v110
	v_accvgpr_write_b32 a86, v108
	v_accvgpr_write_b32 a81, v111
	v_mul_f64 v[110:111], v[104:105], s[48:49]
	v_accvgpr_write_b32 a87, v109
	v_fma_f64 v[108:109], s[10:11], v[168:169], v[108:109]
	v_add_f64 v[16:17], v[108:109], v[16:17]
	v_fma_f64 v[108:109], v[170:171], s[10:11], -v[110:111]
	s_mov_b32 s43, 0x3fe58eea
	s_mov_b32 s42, s46
	v_add_f64 v[18:19], v[108:109], v[18:19]
	v_mul_f64 v[108:109], v[106:107], s[42:43]
	v_accvgpr_write_b32 a92, v110
	v_accvgpr_write_b32 a96, v108
	v_accvgpr_write_b32 a93, v111
	v_mul_f64 v[110:111], v[104:105], s[42:43]
	v_accvgpr_write_b32 a97, v109
	v_fma_f64 v[108:109], s[18:19], v[168:169], v[108:109]
	v_add_f64 v[20:21], v[108:109], v[20:21]
	v_fma_f64 v[108:109], v[170:171], s[18:19], -v[110:111]
	v_add_f64 v[22:23], v[108:109], v[22:23]
	v_mul_f64 v[108:109], v[106:107], s[38:39]
	v_accvgpr_write_b32 a98, v110
	v_accvgpr_write_b32 a104, v108
	v_accvgpr_write_b32 a99, v111
	v_mul_f64 v[110:111], v[104:105], s[38:39]
	v_accvgpr_write_b32 a105, v109
	v_fma_f64 v[108:109], s[0:1], v[168:169], v[108:109]
	v_add_f64 v[32:33], v[108:109], v[32:33]
	v_fma_f64 v[108:109], v[170:171], s[0:1], -v[110:111]
	;; [unrolled: 10-line block ×3, first 2 shown]
	v_mul_f64 v[106:107], v[106:107], s[30:31]
	v_add_f64 v[86:87], v[108:109], v[86:87]
	v_fma_f64 v[108:109], v[168:169], s[20:21], -v[106:107]
	v_mul_f64 v[104:105], v[104:105], s[30:31]
	v_fmac_f64_e32 v[106:107], s[20:21], v[168:169]
	v_add_f64 v[100:101], v[108:109], v[100:101]
	v_fma_f64 v[108:109], s[20:21], v[170:171], v[104:105]
	v_add_f64 v[4:5], v[106:107], v[4:5]
	v_add_f64 v[106:107], v[50:51], -v[82:83]
	v_add_f64 v[102:103], v[108:109], v[102:103]
	v_fma_f64 v[104:105], v[170:171], s[20:21], -v[104:105]
	v_mul_f64 v[108:109], v[106:107], s[40:41]
	v_accvgpr_write_b32 a123, v111
	v_add_f64 v[2:3], v[104:105], v[2:3]
	v_add_f64 v[198:199], v[80:81], v[48:49]
	v_add_f64 v[104:105], v[48:49], -v[80:81]
	v_accvgpr_write_b32 a74, v108
	v_accvgpr_write_b32 a122, v110
	v_add_f64 v[200:201], v[82:83], v[50:51]
	v_mul_f64 v[110:111], v[104:105], s[40:41]
	v_accvgpr_write_b32 a75, v109
	v_fma_f64 v[108:109], s[14:15], v[198:199], v[108:109]
	v_add_f64 v[6:7], v[108:109], v[6:7]
	v_fma_f64 v[108:109], v[200:201], s[14:15], -v[110:111]
	v_add_f64 v[0:1], v[108:109], v[0:1]
	v_mul_f64 v[108:109], v[106:107], s[36:37]
	v_accvgpr_write_b32 a78, v110
	v_accvgpr_write_b32 a84, v108
	v_accvgpr_write_b32 a79, v111
	v_mul_f64 v[110:111], v[104:105], s[36:37]
	v_accvgpr_write_b32 a85, v109
	v_fma_f64 v[108:109], s[22:23], v[198:199], v[108:109]
	v_add_f64 v[8:9], v[108:109], v[8:9]
	v_fma_f64 v[108:109], v[200:201], s[22:23], -v[110:111]
	v_add_f64 v[10:11], v[108:109], v[10:11]
	v_mul_f64 v[108:109], v[106:107], s[48:49]
	v_accvgpr_write_b32 a88, v110
	v_accvgpr_write_b32 a100, v108
	v_accvgpr_write_b32 a89, v111
	;; [unrolled: 10-line block ×4, first 2 shown]
	v_mul_f64 v[110:111], v[104:105], s[34:35]
	v_accvgpr_write_b32 a124, v108
	v_fma_f64 v[108:109], s[6:7], v[198:199], v[108:109]
	v_add_f64 v[20:21], v[108:109], v[20:21]
	v_fma_f64 v[108:109], v[200:201], s[6:7], -v[110:111]
	v_mul_f64 v[240:241], v[106:107], s[30:31]
	v_add_f64 v[22:23], v[108:109], v[22:23]
	v_mul_f64 v[244:245], v[104:105], s[30:31]
	v_fma_f64 v[108:109], s[20:21], v[198:199], v[240:241]
	s_mov_b32 s53, 0x3fe9895b
	s_mov_b32 s52, s26
	v_add_f64 v[32:33], v[108:109], v[32:33]
	v_fma_f64 v[108:109], v[200:201], s[20:21], -v[244:245]
	v_mul_f64 v[252:253], v[106:107], s[52:53]
	v_add_f64 v[34:35], v[108:109], v[34:35]
	v_mul_f64 v[122:123], v[104:105], s[52:53]
	v_fma_f64 v[108:109], s[16:17], v[198:199], v[252:253]
	v_add_f64 v[84:85], v[108:109], v[84:85]
	v_fma_f64 v[108:109], v[200:201], s[16:17], -v[122:123]
	v_mul_f64 v[106:107], v[106:107], s[42:43]
	v_add_f64 v[86:87], v[108:109], v[86:87]
	v_fma_f64 v[108:109], v[198:199], s[18:19], -v[106:107]
	v_mul_f64 v[104:105], v[104:105], s[42:43]
	v_fmac_f64_e32 v[106:107], s[18:19], v[198:199]
	v_add_f64 v[100:101], v[108:109], v[100:101]
	v_fma_f64 v[108:109], s[18:19], v[200:201], v[104:105]
	v_add_f64 v[4:5], v[106:107], v[4:5]
	v_add_f64 v[106:107], v[42:43], -v[78:79]
	v_add_f64 v[102:103], v[108:109], v[102:103]
	v_fma_f64 v[104:105], v[200:201], s[18:19], -v[104:105]
	v_mul_f64 v[108:109], v[106:107], s[24:25]
	v_accvgpr_write_b32 a127, v111
	v_add_f64 v[2:3], v[104:105], v[2:3]
	v_add_f64 v[230:231], v[40:41], v[76:77]
	v_add_f64 v[104:105], v[40:41], -v[76:77]
	v_accvgpr_write_b32 a102, v108
	v_accvgpr_write_b32 a126, v110
	v_add_f64 v[232:233], v[42:43], v[78:79]
	v_mul_f64 v[110:111], v[104:105], s[24:25]
	v_accvgpr_write_b32 a103, v109
	v_fma_f64 v[108:109], s[10:11], v[230:231], v[108:109]
	v_add_f64 v[6:7], v[108:109], v[6:7]
	v_fma_f64 v[108:109], v[232:233], s[10:11], -v[110:111]
	v_add_f64 v[0:1], v[108:109], v[0:1]
	v_mul_f64 v[108:109], v[106:107], s[50:51]
	v_accvgpr_write_b32 a106, v110
	v_accvgpr_write_b32 a113, v109
	;; [unrolled: 1-line block ×3, first 2 shown]
	v_mul_f64 v[110:111], v[104:105], s[50:51]
	v_accvgpr_write_b32 a112, v108
	v_fma_f64 v[108:109], s[20:21], v[230:231], v[108:109]
	v_add_f64 v[8:9], v[108:109], v[8:9]
	v_fma_f64 v[108:109], v[232:233], s[20:21], -v[110:111]
	v_add_f64 v[10:11], v[108:109], v[10:11]
	v_mul_f64 v[108:109], v[106:107], s[42:43]
	v_accvgpr_write_b32 a129, v109
	v_mul_f64 v[248:249], v[104:105], s[42:43]
	v_accvgpr_write_b32 a128, v108
	v_fma_f64 v[108:109], s[18:19], v[230:231], v[108:109]
	v_add_f64 v[12:13], v[108:109], v[12:13]
	v_fma_f64 v[108:109], v[232:233], s[18:19], -v[248:249]
	v_mul_f64 v[254:255], v[106:107], s[34:35]
	v_add_f64 v[14:15], v[108:109], v[14:15]
	v_mul_f64 v[124:125], v[104:105], s[34:35]
	v_fma_f64 v[108:109], s[6:7], v[230:231], v[254:255]
	v_add_f64 v[16:17], v[108:109], v[16:17]
	v_fma_f64 v[108:109], v[232:233], s[6:7], -v[124:125]
	v_mul_f64 v[134:135], v[106:107], s[36:37]
	v_add_f64 v[18:19], v[108:109], v[18:19]
	v_mul_f64 v[116:117], v[104:105], s[36:37]
	v_fma_f64 v[108:109], s[22:23], v[230:231], v[134:135]
	s_mov_b32 s35, 0x3fefdd0d
	s_mov_b32 s34, s40
	v_add_f64 v[20:21], v[108:109], v[20:21]
	v_fma_f64 v[108:109], v[232:233], s[22:23], -v[116:117]
	v_mul_f64 v[118:119], v[106:107], s[34:35]
	v_add_f64 v[22:23], v[108:109], v[22:23]
	v_mul_f64 v[112:113], v[104:105], s[34:35]
	v_fma_f64 v[108:109], s[14:15], v[230:231], v[118:119]
	v_accvgpr_write_b32 a119, v111
	v_add_f64 v[32:33], v[108:109], v[32:33]
	v_fma_f64 v[108:109], v[232:233], s[14:15], -v[112:113]
	v_mul_f64 v[114:115], v[106:107], s[38:39]
	v_accvgpr_write_b32 a118, v110
	v_add_f64 v[34:35], v[108:109], v[34:35]
	v_mul_f64 v[108:109], v[104:105], s[38:39]
	v_fma_f64 v[110:111], s[0:1], v[230:231], v[114:115]
	v_add_f64 v[84:85], v[110:111], v[84:85]
	v_fma_f64 v[110:111], v[232:233], s[0:1], -v[108:109]
	v_mul_f64 v[106:107], v[106:107], s[26:27]
	v_add_f64 v[86:87], v[110:111], v[86:87]
	v_fma_f64 v[110:111], v[230:231], s[16:17], -v[106:107]
	v_mul_f64 v[104:105], v[104:105], s[26:27]
	v_add_f64 v[140:141], v[58:59], -v[74:75]
	v_add_f64 v[100:101], v[110:111], v[100:101]
	v_fma_f64 v[110:111], s[16:17], v[232:233], v[104:105]
	v_fma_f64 v[104:105], v[232:233], s[16:17], -v[104:105]
	v_add_f64 v[126:127], v[72:73], v[56:57]
	v_add_f64 v[138:139], v[56:57], -v[72:73]
	v_mul_f64 v[242:243], v[140:141], s[26:27]
	v_add_f64 v[2:3], v[104:105], v[2:3]
	v_add_f64 v[128:129], v[74:75], v[58:59]
	v_mul_f64 v[246:247], v[138:139], s[26:27]
	v_fma_f64 v[104:105], s[16:17], v[126:127], v[242:243]
	v_add_f64 v[6:7], v[104:105], v[6:7]
	v_fma_f64 v[104:105], v[128:129], s[16:17], -v[246:247]
	v_mul_f64 v[250:251], v[140:141], s[48:49]
	v_add_f64 v[0:1], v[104:105], v[0:1]
	v_mul_f64 v[120:121], v[138:139], s[48:49]
	v_fma_f64 v[104:105], s[10:11], v[126:127], v[250:251]
	v_add_f64 v[8:9], v[104:105], v[8:9]
	v_fma_f64 v[104:105], v[128:129], s[10:11], -v[120:121]
	v_mul_f64 v[136:137], v[140:141], s[38:39]
	;; [unrolled: 6-line block ×4, first 2 shown]
	v_add_f64 v[18:19], v[104:105], v[18:19]
	v_mul_f64 v[164:165], v[138:139], s[34:35]
	v_fma_f64 v[104:105], s[14:15], v[126:127], v[162:163]
	v_add_f64 v[102:103], v[110:111], v[102:103]
	v_add_f64 v[20:21], v[104:105], v[20:21]
	v_fma_f64 v[104:105], v[128:129], s[14:15], -v[164:165]
	v_mul_f64 v[110:111], v[140:141], s[46:47]
	v_add_f64 v[22:23], v[104:105], v[22:23]
	v_mul_f64 v[176:177], v[138:139], s[46:47]
	v_fma_f64 v[104:105], s[18:19], v[126:127], v[110:111]
	v_add_f64 v[32:33], v[104:105], v[32:33]
	v_fma_f64 v[104:105], v[128:129], s[18:19], -v[176:177]
	v_fmac_f64_e32 v[106:107], s[16:17], v[230:231]
	v_add_f64 v[34:35], v[104:105], v[34:35]
	v_mul_f64 v[104:105], v[140:141], s[36:37]
	v_add_f64 v[4:5], v[106:107], v[4:5]
	v_mul_f64 v[106:107], v[138:139], s[36:37]
	v_fma_f64 v[144:145], s[22:23], v[126:127], v[104:105]
	v_add_f64 v[84:85], v[144:145], v[84:85]
	v_fma_f64 v[144:145], v[128:129], s[22:23], -v[106:107]
	v_mul_f64 v[140:141], v[140:141], s[28:29]
	v_add_f64 v[86:87], v[144:145], v[86:87]
	v_fma_f64 v[144:145], v[126:127], s[6:7], -v[140:141]
	v_mul_f64 v[138:139], v[138:139], s[28:29]
	v_add_f64 v[100:101], v[144:145], v[100:101]
	v_fma_f64 v[144:145], s[6:7], v[128:129], v[138:139]
	v_fma_f64 v[138:139], v[128:129], s[6:7], -v[138:139]
	v_add_f64 v[174:175], v[54:55], -v[70:71]
	v_fmac_f64_e32 v[140:141], s[6:7], v[126:127]
	v_add_f64 v[2:3], v[138:139], v[2:3]
	v_add_f64 v[156:157], v[52:53], v[68:69]
	v_add_f64 v[172:173], v[52:53], -v[68:69]
	v_mul_f64 v[138:139], v[174:175], s[30:31]
	v_add_f64 v[102:103], v[144:145], v[102:103]
	v_add_f64 v[4:5], v[140:141], v[4:5]
	v_add_f64 v[158:159], v[54:55], v[70:71]
	v_mul_f64 v[140:141], v[172:173], s[30:31]
	v_fma_f64 v[144:145], s[20:21], v[156:157], v[138:139]
	v_add_f64 v[6:7], v[144:145], v[6:7]
	v_fma_f64 v[144:145], v[158:159], s[20:21], -v[140:141]
	v_add_f64 v[186:187], v[144:145], v[0:1]
	v_mul_f64 v[144:145], v[174:175], s[28:29]
	v_mul_f64 v[154:155], v[172:173], s[28:29]
	v_fma_f64 v[0:1], s[6:7], v[156:157], v[144:145]
	v_add_f64 v[206:207], v[0:1], v[8:9]
	v_fma_f64 v[0:1], v[158:159], s[6:7], -v[154:155]
	v_mul_f64 v[166:167], v[174:175], s[40:41]
	v_add_f64 v[210:211], v[0:1], v[10:11]
	v_mul_f64 v[178:179], v[172:173], s[40:41]
	v_fma_f64 v[0:1], s[14:15], v[156:157], v[166:167]
	v_add_f64 v[8:9], v[0:1], v[12:13]
	v_fma_f64 v[0:1], v[158:159], s[14:15], -v[178:179]
	v_mul_f64 v[184:185], v[174:175], s[52:53]
	v_add_f64 v[10:11], v[0:1], v[14:15]
	;; [unrolled: 6-line block ×5, first 2 shown]
	v_mul_f64 v[208:209], v[172:173], s[42:43]
	v_fma_f64 v[0:1], s[18:19], v[156:157], v[204:205]
	v_add_f64 v[32:33], v[0:1], v[84:85]
	v_fma_f64 v[0:1], v[158:159], s[18:19], -v[208:209]
	v_add_f64 v[34:35], v[0:1], v[86:87]
	v_mul_f64 v[0:1], v[174:175], s[24:25]
	v_fma_f64 v[84:85], v[156:157], s[10:11], -v[0:1]
	v_mul_f64 v[172:173], v[172:173], s[24:25]
	v_fmac_f64_e32 v[0:1], s[10:11], v[156:157]
	v_add_f64 v[216:217], v[60:61], -v[64:65]
	v_add_f64 v[84:85], v[84:85], v[100:101]
	v_fma_f64 v[86:87], s[10:11], v[158:159], v[172:173]
	v_add_f64 v[100:101], v[0:1], v[4:5]
	v_fma_f64 v[0:1], v[158:159], s[10:11], -v[172:173]
	v_add_f64 v[182:183], v[62:63], v[66:67]
	v_add_f64 v[218:219], v[62:63], -v[66:67]
	v_mul_f64 v[174:175], v[216:217], s[36:37]
	v_add_f64 v[86:87], v[86:87], v[102:103]
	v_add_f64 v[102:103], v[0:1], v[2:3]
	;; [unrolled: 1-line block ×3, first 2 shown]
	v_mul_f64 v[172:173], v[218:219], s[36:37]
	v_fma_f64 v[2:3], v[182:183], s[22:23], -v[174:175]
	v_fma_f64 v[0:1], s[22:23], v[180:181], v[172:173]
	v_add_f64 v[2:3], v[2:3], v[186:187]
	v_mul_f64 v[186:187], v[218:219], s[44:45]
	v_add_f64 v[0:1], v[0:1], v[6:7]
	v_accvgpr_write_b32 a15, v3
	v_mul_f64 v[192:193], v[216:217], s[44:45]
	v_fma_f64 v[4:5], s[0:1], v[180:181], v[186:187]
	v_accvgpr_write_b32 a14, v2
	v_accvgpr_write_b32 a13, v1
	;; [unrolled: 1-line block ×3, first 2 shown]
	v_add_f64 v[2:3], v[4:5], v[206:207]
	v_fma_f64 v[6:7], v[182:183], s[0:1], -v[192:193]
	v_mul_f64 v[206:207], v[218:219], s[30:31]
	v_add_f64 v[4:5], v[6:7], v[210:211]
	v_mul_f64 v[210:211], v[216:217], s[30:31]
	v_fma_f64 v[212:213], s[20:21], v[180:181], v[206:207]
	v_add_f64 v[6:7], v[212:213], v[8:9]
	v_fma_f64 v[212:213], v[182:183], s[20:21], -v[210:211]
	v_add_f64 v[8:9], v[212:213], v[10:11]
	v_mul_f64 v[212:213], v[218:219], s[42:43]
	v_mul_f64 v[214:215], v[216:217], s[42:43]
	v_fma_f64 v[220:221], s[18:19], v[180:181], v[212:213]
	v_add_f64 v[10:11], v[220:221], v[12:13]
	v_fma_f64 v[220:221], v[182:183], s[18:19], -v[214:215]
	v_add_f64 v[12:13], v[220:221], v[14:15]
	v_mul_f64 v[220:221], v[218:219], s[26:27]
	;; [unrolled: 6-line block ×4, first 2 shown]
	v_mul_f64 v[234:235], v[216:217], s[24:25]
	v_fma_f64 v[238:239], s[10:11], v[180:181], v[228:229]
	v_add_f64 v[32:33], v[238:239], v[32:33]
	v_fma_f64 v[238:239], v[182:183], s[10:11], -v[234:235]
	v_mul_f64 v[218:219], v[218:219], s[34:35]
	v_add_f64 v[34:35], v[238:239], v[34:35]
	v_fma_f64 v[238:239], v[180:181], s[14:15], -v[218:219]
	v_mul_f64 v[216:217], v[216:217], s[34:35]
	v_add_f64 v[84:85], v[238:239], v[84:85]
	v_fma_f64 v[238:239], s[14:15], v[182:183], v[216:217]
	v_fmac_f64_e32 v[218:219], s[14:15], v[180:181]
	v_fma_f64 v[216:217], v[182:183], s[14:15], -v[216:217]
	v_add_f64 v[86:87], v[238:239], v[86:87]
	v_add_f64 v[100:101], v[218:219], v[100:101]
	;; [unrolled: 1-line block ×3, first 2 shown]
	v_mul_lo_u16_e32 v1, 17, v236
	s_barrier
	s_and_saveexec_b64 s[24:25], vcc
	s_cbranch_execz .LBB0_7
; %bb.6:
	v_mul_f64 v[218:219], v[182:183], s[10:11]
	v_add_f64 v[218:219], v[234:235], v[218:219]
	v_mul_f64 v[234:235], v[158:159], s[18:19]
	v_add_f64 v[208:209], v[208:209], v[234:235]
	;; [unrolled: 2-line block ×4, first 2 shown]
	v_mul_f64 v[234:235], v[200:201], s[16:17]
	v_accvgpr_read_b32 v22, a122
	v_add_f64 v[122:123], v[122:123], v[234:235]
	v_mul_f64 v[234:235], v[170:171], s[14:15]
	v_accvgpr_read_b32 v23, a123
	v_add_f64 v[234:235], v[22:23], v[234:235]
	v_accvgpr_read_b32 v22, a94
	v_mul_f64 v[238:239], v[150:151], s[6:7]
	v_accvgpr_read_b32 v23, a95
	v_add_f64 v[238:239], v[22:23], v[238:239]
	v_accvgpr_read_b32 v22, a58
	v_mul_f64 v[216:217], v[132:133], s[20:21]
	v_accvgpr_read_b32 v23, a59
	v_add_f64 v[216:217], v[22:23], v[216:217]
	v_add_f64 v[216:217], v[26:27], v[216:217]
	;; [unrolled: 1-line block ×7, first 2 shown]
	v_accvgpr_read_b32 v22, a116
	v_add_f64 v[106:107], v[208:209], v[106:107]
	v_mul_f64 v[208:209], v[168:169], s[14:15]
	v_accvgpr_read_b32 v23, a117
	v_add_f64 v[208:209], v[208:209], -v[22:23]
	v_accvgpr_read_b32 v22, a90
	v_mul_f64 v[216:217], v[146:147], s[6:7]
	v_accvgpr_read_b32 v23, a91
	v_mul_f64 v[108:109], v[180:181], s[10:11]
	v_add_f64 v[216:217], v[216:217], -v[22:23]
	v_accvgpr_read_b32 v22, a52
	v_add_f64 v[108:109], v[108:109], -v[228:229]
	v_mul_f64 v[122:123], v[156:157], s[18:19]
	v_mul_f64 v[228:229], v[130:131], s[20:21]
	v_accvgpr_read_b32 v23, a53
	v_add_f64 v[122:123], v[122:123], -v[204:205]
	v_mul_f64 v[204:205], v[126:127], s[22:23]
	v_add_f64 v[228:229], v[228:229], -v[22:23]
	v_add_f64 v[104:105], v[204:205], -v[104:105]
	v_mul_f64 v[204:205], v[230:231], s[0:1]
	v_add_f64 v[228:229], v[24:25], v[228:229]
	v_add_f64 v[114:115], v[204:205], -v[114:115]
	v_mul_f64 v[204:205], v[198:199], s[16:17]
	v_add_f64 v[216:217], v[216:217], v[228:229]
	v_add_f64 v[204:205], v[204:205], -v[252:253]
	v_add_f64 v[208:209], v[208:209], v[216:217]
	v_add_f64 v[204:205], v[204:205], v[208:209]
	;; [unrolled: 1-line block ×4, first 2 shown]
	v_mul_f64 v[114:115], v[158:159], s[22:23]
	v_accvgpr_read_b32 v22, a110
	v_add_f64 v[114:115], v[202:203], v[114:115]
	v_mul_f64 v[202:203], v[170:171], s[0:1]
	v_accvgpr_read_b32 v23, a111
	v_add_f64 v[202:203], v[22:23], v[202:203]
	v_accvgpr_read_b32 v22, a82
	v_mul_f64 v[204:205], v[150:151], s[10:11]
	v_accvgpr_read_b32 v23, a83
	v_add_f64 v[204:205], v[22:23], v[204:205]
	v_accvgpr_read_b32 v22, a46
	v_mul_f64 v[208:209], v[132:133], s[16:17]
	v_accvgpr_read_b32 v23, a47
	v_add_f64 v[104:105], v[122:123], v[104:105]
	v_mul_f64 v[122:123], v[128:129], s[18:19]
	v_add_f64 v[208:209], v[22:23], v[208:209]
	v_add_f64 v[122:123], v[176:177], v[122:123]
	v_mul_f64 v[176:177], v[232:233], s[14:15]
	v_add_f64 v[208:209], v[26:27], v[208:209]
	;; [unrolled: 3-line block ×3, first 2 shown]
	v_add_f64 v[176:177], v[244:245], v[176:177]
	v_add_f64 v[202:203], v[202:203], v[204:205]
	;; [unrolled: 1-line block ×5, first 2 shown]
	v_mul_f64 v[122:123], v[156:157], s[22:23]
	v_accvgpr_read_b32 v22, a104
	v_add_f64 v[122:123], v[122:123], -v[196:197]
	v_mul_f64 v[196:197], v[168:169], s[0:1]
	v_accvgpr_read_b32 v23, a105
	v_add_f64 v[196:197], v[196:197], -v[22:23]
	v_accvgpr_read_b32 v22, a76
	v_mul_f64 v[202:203], v[146:147], s[10:11]
	v_accvgpr_read_b32 v23, a77
	v_add_f64 v[202:203], v[202:203], -v[22:23]
	v_accvgpr_read_b32 v22, a44
	v_mul_f64 v[204:205], v[130:131], s[16:17]
	v_accvgpr_read_b32 v23, a45
	v_mul_f64 v[176:177], v[126:127], s[18:19]
	v_add_f64 v[204:205], v[204:205], -v[22:23]
	v_add_f64 v[110:111], v[176:177], -v[110:111]
	v_mul_f64 v[176:177], v[230:231], s[14:15]
	v_add_f64 v[204:205], v[24:25], v[204:205]
	v_add_f64 v[118:119], v[176:177], -v[118:119]
	v_mul_f64 v[176:177], v[198:199], s[20:21]
	v_add_f64 v[202:203], v[202:203], v[204:205]
	v_add_f64 v[176:177], v[176:177], -v[240:241]
	v_add_f64 v[196:197], v[196:197], v[202:203]
	v_add_f64 v[176:177], v[176:177], v[196:197]
	;; [unrolled: 1-line block ×5, first 2 shown]
	v_mul_f64 v[108:109], v[182:183], s[6:7]
	v_add_f64 v[112:113], v[114:115], v[112:113]
	v_mul_f64 v[114:115], v[180:181], s[6:7]
	v_add_f64 v[118:119], v[122:123], v[110:111]
	v_mul_f64 v[122:123], v[232:233], s[22:23]
	v_accvgpr_read_b32 v22, a126
	v_add_f64 v[108:109], v[226:227], v[108:109]
	v_add_f64 v[114:115], v[114:115], -v[224:225]
	v_add_f64 v[116:117], v[116:117], v[122:123]
	v_mul_f64 v[122:123], v[200:201], s[6:7]
	v_accvgpr_read_b32 v23, a127
	v_add_f64 v[110:111], v[108:109], v[112:113]
	v_add_f64 v[108:109], v[114:115], v[118:119]
	v_mul_f64 v[118:119], v[128:129], s[14:15]
	v_add_f64 v[122:123], v[22:23], v[122:123]
	v_accvgpr_read_b32 v22, a98
	v_add_f64 v[118:119], v[164:165], v[118:119]
	v_mul_f64 v[164:165], v[170:171], s[18:19]
	v_accvgpr_read_b32 v23, a99
	v_add_f64 v[164:165], v[22:23], v[164:165]
	v_accvgpr_read_b32 v22, a70
	v_mul_f64 v[176:177], v[150:151], s[20:21]
	v_accvgpr_read_b32 v23, a71
	v_mul_f64 v[114:115], v[158:159], s[0:1]
	v_add_f64 v[176:177], v[22:23], v[176:177]
	v_accvgpr_read_b32 v22, a42
	v_add_f64 v[114:115], v[194:195], v[114:115]
	v_mul_f64 v[194:195], v[132:133], s[10:11]
	v_accvgpr_read_b32 v23, a43
	v_add_f64 v[194:195], v[22:23], v[194:195]
	v_add_f64 v[194:195], v[26:27], v[194:195]
	;; [unrolled: 1-line block ×6, first 2 shown]
	v_mul_f64 v[122:123], v[126:127], s[14:15]
	v_add_f64 v[122:123], v[122:123], -v[162:163]
	v_mul_f64 v[162:163], v[230:231], s[22:23]
	v_accvgpr_read_b32 v22, a124
	v_add_f64 v[134:135], v[162:163], -v[134:135]
	v_mul_f64 v[162:163], v[198:199], s[6:7]
	v_accvgpr_read_b32 v23, a125
	v_add_f64 v[162:163], v[162:163], -v[22:23]
	v_accvgpr_read_b32 v22, a96
	v_mul_f64 v[164:165], v[168:169], s[18:19]
	v_accvgpr_read_b32 v23, a97
	v_add_f64 v[164:165], v[164:165], -v[22:23]
	v_accvgpr_read_b32 v22, a68
	v_mul_f64 v[176:177], v[146:147], s[20:21]
	v_accvgpr_read_b32 v23, a69
	v_add_f64 v[116:117], v[118:119], v[116:117]
	v_mul_f64 v[118:119], v[156:157], s[0:1]
	v_add_f64 v[176:177], v[176:177], -v[22:23]
	v_accvgpr_read_b32 v22, a38
	v_add_f64 v[118:119], v[118:119], -v[190:191]
	v_mul_f64 v[190:191], v[130:131], s[10:11]
	v_accvgpr_read_b32 v23, a39
	v_add_f64 v[190:191], v[190:191], -v[22:23]
	v_add_f64 v[190:191], v[24:25], v[190:191]
	v_add_f64 v[176:177], v[176:177], v[190:191]
	;; [unrolled: 1-line block ×6, first 2 shown]
	v_mul_f64 v[134:135], v[232:233], s[6:7]
	v_accvgpr_read_b32 v22, a120
	v_add_f64 v[124:125], v[124:125], v[134:135]
	v_mul_f64 v[134:135], v[200:201], s[0:1]
	v_accvgpr_read_b32 v23, a121
	v_add_f64 v[118:119], v[118:119], v[122:123]
	v_mul_f64 v[122:123], v[128:129], s[20:21]
	v_add_f64 v[134:135], v[22:23], v[134:135]
	v_accvgpr_read_b32 v22, a92
	v_add_f64 v[122:123], v[160:161], v[122:123]
	v_mul_f64 v[160:161], v[170:171], s[10:11]
	v_accvgpr_read_b32 v23, a93
	v_add_f64 v[160:161], v[22:23], v[160:161]
	v_accvgpr_read_b32 v22, a66
	v_mul_f64 v[162:163], v[150:151], s[22:23]
	v_accvgpr_read_b32 v23, a67
	v_add_f64 v[162:163], v[22:23], v[162:163]
	v_accvgpr_read_b32 v22, a34
	v_mul_f64 v[164:165], v[132:133], s[14:15]
	v_accvgpr_read_b32 v23, a35
	v_add_f64 v[164:165], v[22:23], v[164:165]
	v_add_f64 v[164:165], v[26:27], v[164:165]
	;; [unrolled: 1-line block ×4, first 2 shown]
	v_accvgpr_read_b32 v22, a114
	v_add_f64 v[134:135], v[134:135], v[160:161]
	v_mul_f64 v[160:161], v[198:199], s[0:1]
	v_accvgpr_read_b32 v23, a115
	v_add_f64 v[160:161], v[160:161], -v[22:23]
	v_accvgpr_read_b32 v22, a86
	v_mul_f64 v[162:163], v[168:169], s[10:11]
	v_accvgpr_read_b32 v23, a87
	v_add_f64 v[162:163], v[162:163], -v[22:23]
	v_accvgpr_read_b32 v22, a62
	;; [unrolled: 4-line block ×3, first 2 shown]
	v_mul_f64 v[176:177], v[130:131], s[14:15]
	v_accvgpr_read_b32 v23, a29
	v_add_f64 v[176:177], v[176:177], -v[22:23]
	v_add_f64 v[176:177], v[24:25], v[176:177]
	v_add_f64 v[124:125], v[124:125], v[134:135]
	v_mul_f64 v[134:135], v[126:127], s[20:21]
	v_add_f64 v[164:165], v[164:165], v[176:177]
	v_add_f64 v[134:135], v[134:135], -v[152:153]
	v_mul_f64 v[152:153], v[230:231], s[6:7]
	v_add_f64 v[162:163], v[162:163], v[164:165]
	v_add_f64 v[152:153], v[152:153], -v[254:255]
	v_add_f64 v[160:161], v[160:161], v[162:163]
	v_mul_f64 v[112:113], v[182:183], s[16:17]
	v_add_f64 v[114:115], v[114:115], v[116:117]
	v_mul_f64 v[116:117], v[180:181], s[16:17]
	v_add_f64 v[152:153], v[152:153], v[160:161]
	v_accvgpr_read_b32 v22, a108
	v_add_f64 v[112:113], v[222:223], v[112:113]
	v_add_f64 v[116:117], v[116:117], -v[220:221]
	v_add_f64 v[134:135], v[134:135], v[152:153]
	v_mul_f64 v[152:153], v[200:201], s[10:11]
	v_accvgpr_read_b32 v23, a109
	v_add_f64 v[114:115], v[112:113], v[114:115]
	v_add_f64 v[112:113], v[116:117], v[118:119]
	v_mul_f64 v[118:119], v[158:159], s[16:17]
	v_add_f64 v[152:153], v[22:23], v[152:153]
	v_accvgpr_read_b32 v22, a80
	v_add_f64 v[118:119], v[188:189], v[118:119]
	v_add_f64 v[122:123], v[122:123], v[124:125]
	v_mul_f64 v[124:125], v[156:157], s[16:17]
	v_mul_f64 v[160:161], v[170:171], s[22:23]
	v_accvgpr_read_b32 v23, a81
	v_mul_f64 v[116:117], v[182:183], s[18:19]
	v_add_f64 v[118:119], v[118:119], v[122:123]
	v_mul_f64 v[122:123], v[180:181], s[18:19]
	v_add_f64 v[124:125], v[124:125], -v[184:185]
	v_add_f64 v[160:161], v[22:23], v[160:161]
	v_accvgpr_read_b32 v22, a54
	v_add_f64 v[116:117], v[214:215], v[116:117]
	v_add_f64 v[122:123], v[122:123], -v[212:213]
	v_add_f64 v[124:125], v[124:125], v[134:135]
	v_mul_f64 v[162:163], v[150:151], s[16:17]
	v_accvgpr_read_b32 v23, a55
	v_add_f64 v[118:119], v[116:117], v[118:119]
	v_add_f64 v[116:117], v[122:123], v[124:125]
	v_mul_f64 v[124:125], v[158:159], s[14:15]
	v_add_f64 v[162:163], v[22:23], v[162:163]
	v_accvgpr_read_b32 v22, a26
	v_add_f64 v[124:125], v[178:179], v[124:125]
	v_mul_f64 v[164:165], v[132:133], s[6:7]
	v_accvgpr_read_b32 v23, a27
	v_mul_f64 v[178:179], v[156:157], s[14:15]
	v_add_f64 v[164:165], v[22:23], v[164:165]
	v_add_f64 v[166:167], v[178:179], -v[166:167]
	v_mul_f64 v[178:179], v[126:127], s[0:1]
	v_accvgpr_read_b32 v22, a128
	v_add_f64 v[136:137], v[178:179], -v[136:137]
	v_mul_f64 v[178:179], v[230:231], s[18:19]
	v_accvgpr_read_b32 v23, a129
	v_add_f64 v[164:165], v[26:27], v[164:165]
	v_add_f64 v[178:179], v[178:179], -v[22:23]
	v_accvgpr_read_b32 v22, a100
	v_mul_f64 v[134:135], v[128:129], s[0:1]
	v_add_f64 v[162:163], v[162:163], v[164:165]
	v_mul_f64 v[184:185], v[198:199], s[10:11]
	v_accvgpr_read_b32 v23, a101
	v_add_f64 v[134:135], v[142:143], v[134:135]
	v_mul_f64 v[142:143], v[232:233], s[18:19]
	v_add_f64 v[160:161], v[160:161], v[162:163]
	v_add_f64 v[184:185], v[184:185], -v[22:23]
	v_accvgpr_read_b32 v22, a72
	v_add_f64 v[142:143], v[248:249], v[142:143]
	v_add_f64 v[152:153], v[152:153], v[160:161]
	v_mul_f64 v[188:189], v[168:169], s[22:23]
	v_accvgpr_read_b32 v23, a73
	v_add_f64 v[142:143], v[142:143], v[152:153]
	v_add_f64 v[188:189], v[188:189], -v[22:23]
	v_accvgpr_read_b32 v22, a48
	v_mul_f64 v[160:161], v[146:147], s[18:19]
	v_add_f64 v[134:135], v[134:135], v[142:143]
	v_mul_f64 v[142:143], v[146:147], s[14:15]
	v_mul_f64 v[146:147], v[146:147], s[16:17]
	v_accvgpr_read_b32 v23, a49
	v_add_f64 v[146:147], v[146:147], -v[22:23]
	v_accvgpr_read_b32 v22, a24
	v_mul_f64 v[176:177], v[130:131], s[0:1]
	v_mul_f64 v[162:163], v[130:131], s[18:19]
	;; [unrolled: 1-line block ×3, first 2 shown]
	v_accvgpr_read_b32 v23, a25
	v_add_f64 v[130:131], v[130:131], -v[22:23]
	v_add_f64 v[130:131], v[24:25], v[130:131]
	v_add_f64 v[130:131], v[146:147], v[130:131]
	v_add_f64 v[130:131], v[188:189], v[130:131]
	v_add_f64 v[130:131], v[184:185], v[130:131]
	v_add_f64 v[130:131], v[178:179], v[130:131]
	v_accvgpr_read_b32 v22, a118
	v_mul_f64 v[122:123], v[182:183], s[20:21]
	v_add_f64 v[124:125], v[124:125], v[134:135]
	v_mul_f64 v[134:135], v[180:181], s[20:21]
	v_mul_f64 v[204:205], v[232:233], s[20:21]
	v_add_f64 v[130:131], v[136:137], v[130:131]
	v_mul_f64 v[136:137], v[128:129], s[16:17]
	v_mul_f64 v[128:129], v[128:129], s[10:11]
	v_accvgpr_read_b32 v23, a119
	v_add_f64 v[122:123], v[210:211], v[122:123]
	v_add_f64 v[134:135], v[134:135], -v[206:207]
	v_add_f64 v[130:131], v[166:167], v[130:131]
	v_add_f64 v[120:121], v[120:121], v[128:129]
	;; [unrolled: 1-line block ×3, first 2 shown]
	v_accvgpr_read_b32 v22, a88
	v_mul_f64 v[146:147], v[200:201], s[14:15]
	v_mul_f64 v[200:201], v[200:201], s[22:23]
	;; [unrolled: 1-line block ×3, first 2 shown]
	v_add_f64 v[124:125], v[122:123], v[124:125]
	v_add_f64 v[122:123], v[134:135], v[130:131]
	v_mul_f64 v[134:135], v[156:157], s[6:7]
	v_mul_f64 v[156:157], v[158:159], s[6:7]
	v_accvgpr_read_b32 v23, a89
	v_add_f64 v[154:155], v[154:155], v[156:157]
	v_add_f64 v[156:157], v[22:23], v[200:201]
	v_accvgpr_read_b32 v22, a64
	v_mul_f64 v[194:195], v[170:171], s[6:7]
	v_mul_f64 v[170:171], v[170:171], s[16:17]
	v_accvgpr_read_b32 v23, a65
	v_add_f64 v[170:171], v[22:23], v[170:171]
	v_accvgpr_read_b32 v22, a40
	v_mul_f64 v[152:153], v[150:151], s[18:19]
	v_mul_f64 v[150:151], v[150:151], s[14:15]
	v_accvgpr_read_b32 v23, a41
	v_add_f64 v[150:151], v[22:23], v[150:151]
	v_accvgpr_read_b32 v22, a22
	v_mul_f64 v[164:165], v[132:133], s[0:1]
	v_mul_f64 v[132:133], v[132:133], s[18:19]
	v_accvgpr_read_b32 v23, a23
	v_add_f64 v[132:133], v[22:23], v[132:133]
	v_add_f64 v[132:133], v[26:27], v[132:133]
	;; [unrolled: 1-line block ×4, first 2 shown]
	v_accvgpr_read_b32 v22, a112
	v_mul_f64 v[202:203], v[230:231], s[20:21]
	v_add_f64 v[132:133], v[156:157], v[132:133]
	v_accvgpr_read_b32 v23, a113
	v_add_f64 v[128:129], v[128:129], v[132:133]
	v_add_f64 v[132:133], v[134:135], -v[144:145]
	v_add_f64 v[134:135], v[202:203], -v[22:23]
	v_accvgpr_read_b32 v22, a84
	v_mul_f64 v[196:197], v[198:199], s[14:15]
	v_mul_f64 v[198:199], v[198:199], s[22:23]
	v_accvgpr_read_b32 v23, a85
	v_add_f64 v[144:145], v[198:199], -v[22:23]
	v_accvgpr_read_b32 v22, a60
	v_mul_f64 v[190:191], v[168:169], s[6:7]
	v_mul_f64 v[168:169], v[168:169], s[16:17]
	v_accvgpr_read_b32 v23, a61
	v_add_f64 v[150:151], v[168:169], -v[22:23]
	v_accvgpr_read_b32 v22, a36
	v_accvgpr_read_b32 v23, a37
	v_add_f64 v[142:143], v[142:143], -v[22:23]
	v_accvgpr_read_b32 v23, a21
	v_add_f64 v[120:121], v[120:121], v[128:129]
	v_accvgpr_read_b32 v22, a20
	v_add_f64 v[120:121], v[154:155], v[120:121]
	v_add_f64 v[154:155], v[162:163], -v[22:23]
	v_add_f64 v[154:155], v[24:25], v[154:155]
	v_add_f64 v[142:143], v[142:143], v[154:155]
	;; [unrolled: 1-line block ×3, first 2 shown]
	v_mul_f64 v[178:179], v[126:127], s[16:17]
	v_mul_f64 v[126:127], v[126:127], s[10:11]
	v_add_f64 v[142:143], v[144:145], v[142:143]
	v_accvgpr_read_b32 v22, a106
	v_mul_f64 v[184:185], v[232:233], s[10:11]
	v_add_f64 v[126:127], v[126:127], -v[250:251]
	v_add_f64 v[134:135], v[134:135], v[142:143]
	v_accvgpr_read_b32 v23, a107
	v_add_f64 v[126:127], v[126:127], v[134:135]
	v_add_f64 v[134:135], v[22:23], v[184:185]
	v_accvgpr_read_b32 v22, a78
	v_accvgpr_read_b32 v23, a79
	v_add_f64 v[126:127], v[132:133], v[126:127]
	v_add_f64 v[132:133], v[246:247], v[136:137]
	;; [unrolled: 1-line block ×3, first 2 shown]
	v_accvgpr_read_b32 v22, a56
	v_mul_f64 v[130:131], v[158:159], s[20:21]
	v_accvgpr_read_b32 v23, a57
	v_add_f64 v[130:131], v[140:141], v[130:131]
	v_add_f64 v[140:141], v[22:23], v[194:195]
	v_accvgpr_read_b32 v22, a32
	v_accvgpr_read_b32 v23, a33
	v_add_f64 v[142:143], v[22:23], v[152:153]
	v_accvgpr_read_b32 v23, a19
	v_accvgpr_read_b32 v22, a18
	v_add_f64 v[144:145], v[22:23], v[164:165]
	v_add_f64 v[144:145], v[26:27], v[144:145]
	;; [unrolled: 1-line block ×4, first 2 shown]
	v_mul_f64 v[158:159], v[182:183], s[0:1]
	v_add_f64 v[136:137], v[136:137], v[140:141]
	v_accvgpr_read_b32 v22, a102
	v_mul_f64 v[188:189], v[230:231], s[10:11]
	v_add_f64 v[158:159], v[192:193], v[158:159]
	v_mul_f64 v[192:193], v[180:181], s[22:23]
	v_mul_f64 v[180:181], v[180:181], s[0:1]
	v_add_f64 v[134:135], v[134:135], v[136:137]
	v_accvgpr_read_b32 v23, a103
	v_mul_f64 v[182:183], v[182:183], s[22:23]
	v_add_f64 v[128:129], v[158:159], v[120:121]
	v_add_f64 v[120:121], v[180:181], -v[186:187]
	v_add_f64 v[132:133], v[132:133], v[134:135]
	v_add_f64 v[136:137], v[188:189], -v[22:23]
	v_accvgpr_read_b32 v22, a74
	v_add_f64 v[126:127], v[120:121], v[126:127]
	v_add_f64 v[120:121], v[174:175], v[182:183]
	;; [unrolled: 1-line block ×3, first 2 shown]
	v_accvgpr_read_b32 v23, a75
	v_add_f64 v[132:133], v[120:121], v[130:131]
	v_add_f64 v[130:131], v[166:167], -v[138:139]
	v_add_f64 v[138:139], v[196:197], -v[22:23]
	v_accvgpr_read_b32 v22, a50
	v_accvgpr_read_b32 v23, a51
	v_add_f64 v[140:141], v[190:191], -v[22:23]
	v_accvgpr_read_b32 v22, a30
	v_accvgpr_read_b32 v23, a31
	;; [unrolled: 3-line block ×3, first 2 shown]
	v_add_f64 v[144:145], v[176:177], -v[22:23]
	v_add_f64 v[144:145], v[24:25], v[144:145]
	v_add_f64 v[26:27], v[26:27], v[38:39]
	v_add_f64 v[24:25], v[24:25], v[36:37]
	v_add_f64 v[26:27], v[30:31], v[26:27]
	v_add_f64 v[24:25], v[28:29], v[24:25]
	v_add_f64 v[26:27], v[46:47], v[26:27]
	v_add_f64 v[24:25], v[44:45], v[24:25]
	v_add_f64 v[26:27], v[50:51], v[26:27]
	v_add_f64 v[24:25], v[48:49], v[24:25]
	v_add_f64 v[26:27], v[42:43], v[26:27]
	v_add_f64 v[24:25], v[40:41], v[24:25]
	v_add_f64 v[26:27], v[58:59], v[26:27]
	v_add_f64 v[24:25], v[56:57], v[24:25]
	v_add_f64 v[26:27], v[54:55], v[26:27]
	v_add_f64 v[24:25], v[52:53], v[24:25]
	v_add_f64 v[26:27], v[62:63], v[26:27]
	v_add_f64 v[24:25], v[60:61], v[24:25]
	v_add_f64 v[26:27], v[66:67], v[26:27]
	v_add_f64 v[24:25], v[64:65], v[24:25]
	v_add_f64 v[26:27], v[70:71], v[26:27]
	v_add_f64 v[24:25], v[68:69], v[24:25]
	v_add_f64 v[142:143], v[142:143], v[144:145]
	v_add_f64 v[26:27], v[74:75], v[26:27]
	v_add_f64 v[24:25], v[72:73], v[24:25]
	v_add_f64 v[140:141], v[140:141], v[142:143]
	v_add_f64 v[26:27], v[78:79], v[26:27]
	v_add_f64 v[24:25], v[76:77], v[24:25]
	v_add_f64 v[138:139], v[138:139], v[140:141]
	v_add_f64 v[26:27], v[82:83], v[26:27]
	v_add_f64 v[24:25], v[80:81], v[24:25]
	v_add_f64 v[134:135], v[178:179], -v[242:243]
	v_add_f64 v[136:137], v[136:137], v[138:139]
	v_add_f64 v[26:27], v[90:91], v[26:27]
	;; [unrolled: 1-line block ×6, first 2 shown]
	v_add_f64 v[120:121], v[192:193], -v[172:173]
	v_add_f64 v[130:131], v[130:131], v[134:135]
	v_add_f64 v[26:27], v[98:99], v[26:27]
	;; [unrolled: 1-line block ×3, first 2 shown]
	v_add_lshl_u32 v0, v237, v1, 4
	v_add_f64 v[106:107], v[218:219], v[106:107]
	v_add_f64 v[130:131], v[120:121], v[130:131]
	ds_write_b128 v0, v[24:27]
	ds_write_b128 v0, v[130:133] offset:16
	ds_write_b128 v0, v[126:129] offset:32
	;; [unrolled: 1-line block ×15, first 2 shown]
	v_mov_b64_e32 v[24:25], v[20:21]
	v_mov_b64_e32 v[22:23], v[18:19]
	;; [unrolled: 1-line block ×16, first 2 shown]
	ds_write_b128 v0, a[12:15] offset:256
.LBB0_7:
	s_or_b64 exec, exec, s[24:25]
	s_movk_i32 s6, 0x70
	v_mov_b64_e32 v[24:25], s[4:5]
	v_mad_u64_u32 v[56:57], s[4:5], v236, s6, v[24:25]
	s_load_dwordx4 s[0:3], s[2:3], 0x0
	s_waitcnt lgkmcnt(0)
	s_barrier
	global_load_dwordx4 v[40:43], v[56:57], off
	global_load_dwordx4 v[36:39], v[56:57], off offset:16
	global_load_dwordx4 v[28:31], v[56:57], off offset:32
	;; [unrolled: 1-line block ×6, first 2 shown]
	v_add_lshl_u32 v215, v237, v236, 4
	ds_read_b128 v[56:59], v215
	ds_read_b128 v[60:63], v215 offset:272
	ds_read_b128 v[64:67], v215 offset:544
	;; [unrolled: 1-line block ×7, first 2 shown]
	s_mov_b32 s4, 0x667f3bcd
	s_mov_b32 s5, 0xbfe6a09e
	;; [unrolled: 1-line block ×4, first 2 shown]
	v_accvgpr_read_b32 v0, a10
	v_lshl_add_u32 v214, v236, 4, v0
	s_waitcnt vmcnt(6) lgkmcnt(6)
	v_mul_f64 v[92:93], v[62:63], v[42:43]
	v_mul_f64 v[94:95], v[60:61], v[42:43]
	s_waitcnt vmcnt(5) lgkmcnt(5)
	v_mul_f64 v[96:97], v[66:67], v[38:39]
	v_mul_f64 v[98:99], v[64:65], v[38:39]
	;; [unrolled: 3-line block ×7, first 2 shown]
	v_fma_f64 v[60:61], v[60:61], v[40:41], -v[92:93]
	v_fmac_f64_e32 v[94:95], v[62:63], v[40:41]
	v_fma_f64 v[62:63], v[64:65], v[36:37], -v[96:97]
	v_fmac_f64_e32 v[98:99], v[66:67], v[36:37]
	;; [unrolled: 2-line block ×7, first 2 shown]
	v_add_f64 v[66:67], v[56:57], -v[66:67]
	v_add_f64 v[74:75], v[58:59], -v[110:111]
	v_add_f64 v[70:71], v[62:63], -v[70:71]
	v_add_f64 v[76:77], v[98:99], -v[118:119]
	v_add_f64 v[68:69], v[60:61], -v[68:69]
	v_add_f64 v[78:79], v[94:95], -v[114:115]
	v_add_f64 v[72:73], v[64:65], -v[72:73]
	v_add_f64 v[80:81], v[106:107], -v[122:123]
	v_fma_f64 v[56:57], v[56:57], 2.0, -v[66:67]
	v_fma_f64 v[62:63], v[62:63], 2.0, -v[70:71]
	v_fma_f64 v[82:83], v[98:99], 2.0, -v[76:77]
	v_fma_f64 v[88:89], v[94:95], 2.0, -v[78:79]
	v_add_f64 v[76:77], v[66:67], -v[76:77]
	v_add_f64 v[92:93], v[74:75], v[70:71]
	v_add_f64 v[94:95], v[68:69], -v[80:81]
	v_add_f64 v[96:97], v[78:79], v[72:73]
	v_fma_f64 v[58:59], v[58:59], 2.0, -v[74:75]
	v_fma_f64 v[60:61], v[60:61], 2.0, -v[68:69]
	;; [unrolled: 1-line block ×4, first 2 shown]
	v_add_f64 v[70:71], v[56:57], -v[62:63]
	v_fma_f64 v[62:63], v[66:67], 2.0, -v[76:77]
	v_fma_f64 v[80:81], v[74:75], 2.0, -v[92:93]
	;; [unrolled: 1-line block ×4, first 2 shown]
	v_add_f64 v[98:99], v[58:59], -v[82:83]
	v_add_f64 v[82:83], v[60:61], -v[64:65]
	v_fma_f64 v[72:73], s[4:5], v[68:69], v[62:63]
	v_fma_f64 v[74:75], s[4:5], v[78:79], v[80:81]
	v_add_f64 v[90:91], v[88:89], -v[90:91]
	v_fma_f64 v[56:57], v[56:57], 2.0, -v[70:71]
	v_fma_f64 v[60:61], v[60:61], 2.0, -v[82:83]
	v_fmac_f64_e32 v[72:73], s[4:5], v[78:79]
	v_fmac_f64_e32 v[74:75], s[6:7], v[68:69]
	v_fma_f64 v[58:59], v[58:59], 2.0, -v[98:99]
	v_fma_f64 v[66:67], v[88:89], 2.0, -v[90:91]
	v_add_f64 v[64:65], v[56:57], -v[60:61]
	v_fma_f64 v[60:61], v[62:63], 2.0, -v[72:73]
	v_fma_f64 v[62:63], v[80:81], 2.0, -v[74:75]
	v_add_f64 v[80:81], v[70:71], -v[90:91]
	v_fma_f64 v[88:89], s[6:7], v[94:95], v[76:77]
	v_fma_f64 v[90:91], s[6:7], v[96:97], v[92:93]
	v_add_f64 v[66:67], v[58:59], -v[66:67]
	v_add_f64 v[82:83], v[98:99], v[82:83]
	v_fmac_f64_e32 v[88:89], s[4:5], v[96:97]
	v_fmac_f64_e32 v[90:91], s[6:7], v[94:95]
	v_fma_f64 v[56:57], v[56:57], 2.0, -v[64:65]
	v_fma_f64 v[58:59], v[58:59], 2.0, -v[66:67]
	;; [unrolled: 1-line block ×6, first 2 shown]
	ds_write_b128 v214, v[56:59]
	ds_write_b128 v214, v[60:63] offset:272
	ds_write_b128 v214, v[68:71] offset:544
	;; [unrolled: 1-line block ×7, first 2 shown]
	s_waitcnt lgkmcnt(0)
	s_barrier
	s_and_saveexec_b64 s[4:5], vcc
	s_cbranch_execz .LBB0_9
; %bb.8:
	global_load_dwordx4 v[96:99], v149, s[8:9] offset:2176
	s_add_u32 s6, s8, 0x880
	s_addc_u32 s7, s9, 0
	global_load_dwordx4 v[92:95], v149, s[6:7] offset:128
	global_load_dwordx4 v[104:107], v149, s[6:7] offset:256
	;; [unrolled: 1-line block ×12, first 2 shown]
	v_accvgpr_read_b32 v0, a9
	ds_read_b128 v[150:153], v0
	global_load_dwordx4 v[154:157], v149, s[6:7] offset:1664
	global_load_dwordx4 v[158:161], v149, s[6:7] offset:1792
	;; [unrolled: 1-line block ×4, first 2 shown]
	s_waitcnt vmcnt(16) lgkmcnt(0)
	v_mul_f64 v[170:171], v[152:153], v[98:99]
	v_mul_f64 v[172:173], v[150:151], v[98:99]
	v_fma_f64 v[170:171], v[150:151], v[96:97], -v[170:171]
	v_fmac_f64_e32 v[172:173], v[152:153], v[96:97]
	ds_write_b128 v0, v[170:173]
	ds_read_b128 v[96:99], v214 offset:128
	ds_read_b128 v[150:153], v214 offset:256
	;; [unrolled: 1-line block ×12, first 2 shown]
	s_waitcnt vmcnt(15) lgkmcnt(11)
	v_mul_f64 v[210:211], v[98:99], v[94:95]
	v_mul_f64 v[212:213], v[96:97], v[94:95]
	s_waitcnt vmcnt(14) lgkmcnt(10)
	v_mul_f64 v[216:217], v[152:153], v[106:107]
	v_mul_f64 v[94:95], v[150:151], v[106:107]
	;; [unrolled: 3-line block ×11, first 2 shown]
	v_fma_f64 v[210:211], v[96:97], v[92:93], -v[210:211]
	v_fmac_f64_e32 v[212:213], v[98:99], v[92:93]
	v_fma_f64 v[92:93], v[150:151], v[104:105], -v[216:217]
	v_fmac_f64_e32 v[94:95], v[152:153], v[104:105]
	;; [unrolled: 2-line block ×11, first 2 shown]
	ds_write_b128 v214, v[210:213] offset:128
	ds_write_b128 v214, v[92:95] offset:256
	;; [unrolled: 1-line block ×11, first 2 shown]
	ds_read_b128 v[96:99], v214 offset:1664
	s_waitcnt vmcnt(4) lgkmcnt(12)
	v_mul_f64 v[92:93], v[208:209], v[146:147]
	v_mul_f64 v[94:95], v[206:207], v[146:147]
	v_fma_f64 v[92:93], v[206:207], v[144:145], -v[92:93]
	v_fmac_f64_e32 v[94:95], v[208:209], v[144:145]
	ds_write_b128 v214, v[92:95] offset:1536
	ds_read_b128 v[92:95], v214 offset:1792
	s_waitcnt vmcnt(3) lgkmcnt(2)
	v_mul_f64 v[104:105], v[98:99], v[156:157]
	v_mul_f64 v[106:107], v[96:97], v[156:157]
	v_fma_f64 v[104:105], v[96:97], v[154:155], -v[104:105]
	v_fmac_f64_e32 v[106:107], v[98:99], v[154:155]
	ds_write_b128 v214, v[104:107] offset:1664
	ds_read_b128 v[104:107], v214 offset:1920
	s_waitcnt vmcnt(2) lgkmcnt(2)
	v_mul_f64 v[96:97], v[94:95], v[160:161]
	v_mul_f64 v[98:99], v[92:93], v[160:161]
	v_fma_f64 v[96:97], v[92:93], v[158:159], -v[96:97]
	v_fmac_f64_e32 v[98:99], v[94:95], v[158:159]
	ds_read_b128 v[92:95], v214 offset:2048
	ds_write_b128 v214, v[96:99] offset:1792
	s_waitcnt vmcnt(1) lgkmcnt(2)
	v_mul_f64 v[96:97], v[106:107], v[164:165]
	v_mul_f64 v[98:99], v[104:105], v[164:165]
	v_fma_f64 v[96:97], v[104:105], v[162:163], -v[96:97]
	v_fmac_f64_e32 v[98:99], v[106:107], v[162:163]
	ds_write_b128 v214, v[96:99] offset:1920
	s_waitcnt vmcnt(0) lgkmcnt(2)
	v_mul_f64 v[96:97], v[94:95], v[168:169]
	v_mul_f64 v[98:99], v[92:93], v[168:169]
	v_fma_f64 v[96:97], v[92:93], v[166:167], -v[96:97]
	v_fmac_f64_e32 v[98:99], v[94:95], v[166:167]
	ds_write_b128 v214, v[96:99] offset:2048
.LBB0_9:
	s_or_b64 exec, exec, s[4:5]
	s_waitcnt lgkmcnt(0)
	s_barrier
	s_and_saveexec_b64 s[4:5], vcc
	s_cbranch_execz .LBB0_11
; %bb.10:
	v_accvgpr_read_b32 v0, a9
	ds_read_b128 v[56:59], v0
	ds_read_b128 v[60:63], v214 offset:128
	ds_read_b128 v[68:71], v214 offset:256
	ds_read_b128 v[76:79], v214 offset:384
	ds_read_b128 v[64:67], v214 offset:512
	ds_read_b128 v[72:75], v214 offset:640
	ds_read_b128 v[80:83], v214 offset:768
	ds_read_b128 v[88:91], v214 offset:896
	ds_read_b128 v[84:87], v214 offset:1024
	ds_read_b128 v[100:103], v214 offset:1152
	ds_read_b128 v[32:35], v214 offset:1280
	ds_read_b128 v[18:21], v214 offset:1408
	ds_read_b128 v[14:17], v214 offset:1536
	ds_read_b128 v[10:13], v214 offset:1664
	ds_read_b128 v[6:9], v214 offset:1792
	ds_read_b128 v[2:5], v214 offset:1920
	ds_read_b128 a[12:15], v214 offset:2048
.LBB0_11:
	s_or_b64 exec, exec, s[4:5]
	s_waitcnt lgkmcnt(0)
	s_barrier
	s_and_saveexec_b64 s[4:5], vcc
	s_cbranch_execz .LBB0_13
; %bb.12:
	v_mov_b64_e32 v[136:137], v[8:9]
	v_mov_b64_e32 v[140:141], v[4:5]
	v_add_f64 v[186:187], v[76:77], -v[6:7]
	v_add_f64 v[168:169], v[70:71], v[4:5]
	v_mov_b64_e32 v[134:135], v[6:7]
	v_mov_b64_e32 v[138:139], v[2:3]
	v_accvgpr_read_b32 v4, a12
	v_accvgpr_read_b32 v5, a13
	s_mov_b32 s34, 0xacd6c6b4
	s_mov_b32 s38, 0x5d8e7cdc
	v_accvgpr_read_b32 v6, a14
	v_accvgpr_read_b32 v7, a15
	v_add_f64 v[196:197], v[60:61], -v[4:5]
	s_mov_b32 s35, 0xbfc7851a
	s_mov_b32 s28, 0x7faef3
	v_add_f64 v[194:195], v[68:69], -v[2:3]
	s_mov_b32 s39, 0x3fd71e95
	s_mov_b32 s24, 0x370991
	v_mul_f64 v[124:125], v[196:197], s[34:35]
	v_add_f64 v[172:173], v[6:7], v[62:63]
	s_mov_b32 s29, 0xbfef7484
	v_add_f64 v[212:213], v[62:63], -v[6:7]
	s_mov_b32 s44, 0x2a9d6da3
	s_mov_b32 s22, 0x910ea3b9
	v_mul_f64 v[120:121], v[194:195], s[38:39]
	s_mov_b32 s25, 0x3fedd6d0
	v_fma_f64 v[126:127], s[28:29], v[172:173], v[124:125]
	v_add_f64 v[210:211], v[70:71], -v[140:141]
	v_accvgpr_write_b32 a20, v138
	v_add_f64 v[192:193], v[4:5], v[60:61]
	v_mul_f64 v[142:143], v[212:213], s[34:35]
	v_add_f64 v[174:175], v[64:65], -v[10:11]
	s_mov_b32 s45, 0x3fe58eea
	v_mul_f64 v[116:117], v[186:187], s[30:31]
	v_add_f64 v[164:165], v[8:9], v[78:79]
	s_mov_b32 s23, 0xbfeb34fa
	v_fma_f64 v[122:123], s[24:25], v[168:169], v[120:121]
	v_add_f64 v[126:127], v[58:59], v[126:127]
	v_add_f64 v[208:209], v[78:79], -v[136:137]
	v_accvgpr_write_b32 a16, v134
	v_add_f64 v[190:191], v[68:69], v[138:139]
	v_accvgpr_write_b32 a21, v139
	v_accvgpr_write_b32 a22, v140
	v_accvgpr_write_b32 a23, v141
	v_mul_f64 v[138:139], v[210:211], s[38:39]
	v_fma_f64 v[144:145], v[192:193], s[28:29], -v[142:143]
	s_mov_b32 s36, 0x7c9e640b
	v_add_f64 v[170:171], v[72:73], -v[14:15]
	v_mul_f64 v[112:113], v[174:175], s[44:45]
	v_add_f64 v[160:161], v[12:13], v[66:67]
	v_fma_f64 v[118:119], s[22:23], v[164:165], v[116:117]
	v_add_f64 v[122:123], v[122:123], v[126:127]
	v_add_f64 v[206:207], v[66:67], -v[12:13]
	v_add_f64 v[188:189], v[134:135], v[76:77]
	v_accvgpr_write_b32 a17, v135
	v_accvgpr_write_b32 a18, v136
	;; [unrolled: 1-line block ×3, first 2 shown]
	v_mul_f64 v[134:135], v[208:209], s[30:31]
	v_fma_f64 v[140:141], v[190:191], s[24:25], -v[138:139]
	v_add_f64 v[144:145], v[56:57], v[144:145]
	s_mov_b32 s20, 0x923c349f
	v_add_f64 v[166:167], v[80:81], -v[18:19]
	s_mov_b32 s37, 0x3feca52d
	s_mov_b32 s14, 0x2b2883cd
	v_mul_f64 v[108:109], v[170:171], s[26:27]
	v_add_f64 v[156:157], v[74:75], v[16:17]
	v_fma_f64 v[114:115], s[18:19], v[160:161], v[112:113]
	v_add_f64 v[118:119], v[118:119], v[122:123]
	v_add_f64 v[204:205], v[74:75], -v[16:17]
	v_add_f64 v[184:185], v[10:11], v[64:65]
	v_mul_f64 v[130:131], v[206:207], s[44:45]
	v_fma_f64 v[136:137], v[188:189], s[22:23], -v[134:135]
	v_add_f64 v[140:141], v[140:141], v[144:145]
	s_mov_b32 s48, 0xeb564b22
	v_add_f64 v[162:163], v[88:89], -v[32:33]
	s_mov_b32 s21, 0xbfeec746
	v_mul_f64 v[104:105], v[166:167], s[36:37]
	v_add_f64 v[154:155], v[20:21], v[82:83]
	s_mov_b32 s15, 0x3fdc86fa
	v_fma_f64 v[110:111], s[16:17], v[156:157], v[108:109]
	v_add_f64 v[114:115], v[114:115], v[118:119]
	v_add_f64 v[202:203], v[82:83], -v[20:21]
	v_add_f64 v[182:183], v[72:73], v[14:15]
	v_mul_f64 v[126:127], v[204:205], s[26:27]
	v_fma_f64 v[132:133], v[184:185], s[18:19], -v[130:131]
	v_add_f64 v[136:137], v[136:137], v[140:141]
	v_add_f64 v[158:159], v[84:85], -v[100:101]
	s_mov_b32 s49, 0x3fefdd0d
	s_mov_b32 s6, 0x3259b75e
	v_mul_f64 v[98:99], v[162:163], s[20:21]
	v_add_f64 v[152:153], v[90:91], v[34:35]
	v_fma_f64 v[106:107], s[14:15], v[154:155], v[104:105]
	v_add_f64 v[110:111], v[110:111], v[114:115]
	v_add_f64 v[200:201], v[90:91], -v[34:35]
	v_add_f64 v[180:181], v[18:19], v[80:81]
	v_mul_f64 v[118:119], v[202:203], s[36:37]
	v_fma_f64 v[128:129], v[182:183], s[16:17], -v[126:127]
	v_add_f64 v[132:133], v[132:133], v[136:137]
	v_mul_f64 v[96:97], v[158:159], s[48:49]
	v_add_f64 v[150:151], v[86:87], v[102:103]
	s_mov_b32 s7, 0x3fb79ee6
	v_fma_f64 v[94:95], s[10:11], v[152:153], v[98:99]
	v_add_f64 v[106:107], v[106:107], v[110:111]
	v_add_f64 v[198:199], v[86:87], -v[102:103]
	v_add_f64 v[178:179], v[88:89], v[32:33]
	v_mul_f64 v[110:111], v[200:201], s[20:21]
	v_fma_f64 v[122:123], v[180:181], s[14:15], -v[118:119]
	v_add_f64 v[128:129], v[128:129], v[132:133]
	v_fma_f64 v[92:93], s[6:7], v[150:151], v[96:97]
	v_add_f64 v[94:95], v[94:95], v[106:107]
	v_add_f64 v[176:177], v[84:85], v[100:101]
	v_mul_f64 v[106:107], v[198:199], s[48:49]
	v_fma_f64 v[114:115], v[178:179], s[10:11], -v[110:111]
	v_add_f64 v[122:123], v[122:123], v[128:129]
	v_add_f64 v[94:95], v[92:93], v[94:95]
	v_fma_f64 v[92:93], v[176:177], s[6:7], -v[106:107]
	v_add_f64 v[114:115], v[114:115], v[122:123]
	v_add_f64 v[92:93], v[92:93], v[114:115]
	v_fma_f64 v[114:115], v[164:165], s[22:23], -v[116:117]
	v_fma_f64 v[116:117], v[168:169], s[24:25], -v[120:121]
	;; [unrolled: 1-line block ×3, first 2 shown]
	v_add_f64 v[120:121], v[58:59], v[120:121]
	v_add_f64 v[116:117], v[116:117], v[120:121]
	v_fma_f64 v[112:113], v[160:161], s[18:19], -v[112:113]
	v_add_f64 v[114:115], v[114:115], v[116:117]
	v_fma_f64 v[108:109], v[156:157], s[16:17], -v[108:109]
	;; [unrolled: 2-line block ×5, first 2 shown]
	v_add_f64 v[98:99], v[98:99], v[104:105]
	v_fmac_f64_e32 v[142:143], s[28:29], v[192:193]
	v_add_f64 v[98:99], v[96:97], v[98:99]
	v_fmac_f64_e32 v[138:139], s[24:25], v[190:191]
	;; [unrolled: 2-line block ×3, first 2 shown]
	v_add_f64 v[96:97], v[138:139], v[96:97]
	v_mul_f64 v[132:133], v[196:197], s[30:31]
	v_fmac_f64_e32 v[130:131], s[18:19], v[184:185]
	v_add_f64 v[96:97], v[134:135], v[96:97]
	s_mov_b32 s43, 0xbfefdd0d
	s_mov_b32 s42, s48
	v_mul_f64 v[128:129], v[194:195], s[36:37]
	v_fma_f64 v[134:135], s[22:23], v[172:173], v[132:133]
	v_mul_f64 v[218:219], v[212:213], s[30:31]
	v_fmac_f64_e32 v[126:127], s[16:17], v[182:183]
	v_add_f64 v[96:97], v[130:131], v[96:97]
	s_mov_b32 s55, 0x3fe9895b
	s_mov_b32 s54, s26
	v_mul_f64 v[124:125], v[186:187], s[42:43]
	v_fma_f64 v[130:131], s[14:15], v[168:169], v[128:129]
	v_add_f64 v[134:135], v[58:59], v[134:135]
	v_mul_f64 v[146:147], v[210:211], s[36:37]
	v_fma_f64 v[220:221], v[192:193], s[22:23], -v[218:219]
	v_add_f64 v[96:97], v[126:127], v[96:97]
	s_mov_b32 s41, 0xbfd71e95
	s_mov_b32 s40, s38
	v_mul_f64 v[120:121], v[174:175], s[54:55]
	v_fma_f64 v[126:127], s[6:7], v[164:165], v[124:125]
	v_add_f64 v[130:131], v[130:131], v[134:135]
	v_mul_f64 v[142:143], v[208:209], s[42:43]
	v_fma_f64 v[216:217], v[190:191], s[14:15], -v[146:147]
	v_add_f64 v[220:221], v[56:57], v[220:221]
	v_fmac_f64_e32 v[118:119], s[14:15], v[180:181]
	v_mul_f64 v[116:117], v[170:171], s[40:41]
	v_fma_f64 v[122:123], s[16:17], v[160:161], v[120:121]
	v_add_f64 v[126:127], v[126:127], v[130:131]
	v_mul_f64 v[138:139], v[206:207], s[54:55]
	v_fma_f64 v[144:145], v[188:189], s[6:7], -v[142:143]
	v_add_f64 v[216:217], v[216:217], v[220:221]
	v_fmac_f64_e32 v[110:111], s[10:11], v[178:179]
	v_add_f64 v[96:97], v[118:119], v[96:97]
	v_mul_f64 v[112:113], v[166:167], s[34:35]
	v_fma_f64 v[118:119], s[24:25], v[156:157], v[116:117]
	v_add_f64 v[122:123], v[122:123], v[126:127]
	v_mul_f64 v[134:135], v[204:205], s[40:41]
	v_fma_f64 v[140:141], v[184:185], s[16:17], -v[138:139]
	v_add_f64 v[144:145], v[144:145], v[216:217]
	v_fmac_f64_e32 v[106:107], s[6:7], v[176:177]
	v_add_f64 v[96:97], v[110:111], v[96:97]
	v_mul_f64 v[110:111], v[162:163], s[44:45]
	v_fma_f64 v[114:115], s[28:29], v[154:155], v[112:113]
	v_add_f64 v[118:119], v[118:119], v[122:123]
	v_mul_f64 v[126:127], v[202:203], s[34:35]
	v_fma_f64 v[136:137], v[182:183], s[24:25], -v[134:135]
	v_add_f64 v[140:141], v[140:141], v[144:145]
	v_add_f64 v[96:97], v[106:107], v[96:97]
	v_mul_f64 v[108:109], v[158:159], s[20:21]
	v_fma_f64 v[106:107], s[18:19], v[152:153], v[110:111]
	v_add_f64 v[114:115], v[114:115], v[118:119]
	v_mul_f64 v[118:119], v[200:201], s[44:45]
	v_fma_f64 v[130:131], v[180:181], s[28:29], -v[126:127]
	v_add_f64 v[136:137], v[136:137], v[140:141]
	v_fma_f64 v[104:105], s[10:11], v[150:151], v[108:109]
	v_add_f64 v[106:107], v[106:107], v[114:115]
	v_mul_f64 v[114:115], v[198:199], s[20:21]
	v_fma_f64 v[122:123], v[178:179], s[18:19], -v[118:119]
	v_add_f64 v[130:131], v[130:131], v[136:137]
	v_add_f64 v[106:107], v[104:105], v[106:107]
	v_fma_f64 v[104:105], v[176:177], s[10:11], -v[114:115]
	v_add_f64 v[122:123], v[122:123], v[130:131]
	v_add_f64 v[104:105], v[104:105], v[122:123]
	v_fma_f64 v[122:123], v[164:165], s[6:7], -v[124:125]
	v_fma_f64 v[124:125], v[168:169], s[14:15], -v[128:129]
	;; [unrolled: 1-line block ×3, first 2 shown]
	v_add_f64 v[128:129], v[58:59], v[128:129]
	v_add_f64 v[124:125], v[124:125], v[128:129]
	v_fma_f64 v[120:121], v[160:161], s[16:17], -v[120:121]
	v_add_f64 v[122:123], v[122:123], v[124:125]
	v_fma_f64 v[116:117], v[156:157], s[24:25], -v[116:117]
	v_add_f64 v[120:121], v[120:121], v[122:123]
	v_fma_f64 v[112:113], v[154:155], s[28:29], -v[112:113]
	v_add_f64 v[116:117], v[116:117], v[120:121]
	v_fma_f64 v[110:111], v[152:153], s[18:19], -v[110:111]
	v_add_f64 v[112:113], v[112:113], v[116:117]
	v_fma_f64 v[108:109], v[150:151], s[10:11], -v[108:109]
	v_add_f64 v[110:111], v[110:111], v[112:113]
	v_fmac_f64_e32 v[218:219], s[22:23], v[192:193]
	v_add_f64 v[110:111], v[108:109], v[110:111]
	v_fmac_f64_e32 v[146:147], s[14:15], v[190:191]
	;; [unrolled: 2-line block ×3, first 2 shown]
	v_add_f64 v[108:109], v[146:147], v[108:109]
	s_mov_b32 s53, 0x3feec746
	s_mov_b32 s52, s20
	v_mul_f64 v[140:141], v[196:197], s[26:27]
	v_fmac_f64_e32 v[138:139], s[16:17], v[184:185]
	v_add_f64 v[108:109], v[142:143], v[108:109]
	v_mul_f64 v[136:137], v[194:195], s[52:53]
	v_fma_f64 v[142:143], s[16:17], v[172:173], v[140:141]
	v_mul_f64 v[226:227], v[212:213], s[26:27]
	v_fmac_f64_e32 v[134:135], s[24:25], v[182:183]
	v_add_f64 v[108:109], v[138:139], v[108:109]
	v_mul_f64 v[132:133], v[186:187], s[40:41]
	v_fma_f64 v[138:139], s[10:11], v[168:169], v[136:137]
	v_add_f64 v[142:143], v[58:59], v[142:143]
	v_mul_f64 v[222:223], v[210:211], s[52:53]
	v_fma_f64 v[228:229], v[192:193], s[16:17], -v[226:227]
	v_add_f64 v[108:109], v[134:135], v[108:109]
	v_mul_f64 v[128:129], v[174:175], s[30:31]
	v_fma_f64 v[134:135], s[24:25], v[164:165], v[132:133]
	v_add_f64 v[138:139], v[138:139], v[142:143]
	v_mul_f64 v[218:219], v[208:209], s[40:41]
	v_fma_f64 v[224:225], v[190:191], s[10:11], -v[222:223]
	v_add_f64 v[228:229], v[56:57], v[228:229]
	v_fmac_f64_e32 v[126:127], s[28:29], v[180:181]
	s_mov_b32 s47, 0xbfe58eea
	s_mov_b32 s46, s44
	v_mul_f64 v[124:125], v[170:171], s[48:49]
	v_fma_f64 v[130:131], s[22:23], v[160:161], v[128:129]
	v_add_f64 v[134:135], v[134:135], v[138:139]
	v_mul_f64 v[146:147], v[206:207], s[30:31]
	v_fma_f64 v[220:221], v[188:189], s[24:25], -v[218:219]
	v_add_f64 v[224:225], v[224:225], v[228:229]
	v_fmac_f64_e32 v[118:119], s[18:19], v[178:179]
	v_add_f64 v[108:109], v[126:127], v[108:109]
	v_mul_f64 v[120:121], v[166:167], s[46:47]
	v_fma_f64 v[126:127], s[6:7], v[156:157], v[124:125]
	v_add_f64 v[130:131], v[130:131], v[134:135]
	v_mul_f64 v[142:143], v[204:205], s[48:49]
	v_fma_f64 v[216:217], v[184:185], s[22:23], -v[146:147]
	v_add_f64 v[220:221], v[220:221], v[224:225]
	v_fmac_f64_e32 v[114:115], s[10:11], v[176:177]
	v_add_f64 v[108:109], v[118:119], v[108:109]
	v_mul_f64 v[118:119], v[162:163], s[34:35]
	v_fma_f64 v[122:123], s[18:19], v[154:155], v[120:121]
	v_add_f64 v[126:127], v[126:127], v[130:131]
	v_mul_f64 v[134:135], v[202:203], s[46:47]
	v_fma_f64 v[144:145], v[182:183], s[6:7], -v[142:143]
	v_add_f64 v[216:217], v[216:217], v[220:221]
	v_add_f64 v[108:109], v[114:115], v[108:109]
	v_mul_f64 v[116:117], v[158:159], s[36:37]
	v_fma_f64 v[114:115], s[28:29], v[152:153], v[118:119]
	v_add_f64 v[122:123], v[122:123], v[126:127]
	v_mul_f64 v[126:127], v[200:201], s[34:35]
	v_fma_f64 v[138:139], v[180:181], s[18:19], -v[134:135]
	v_add_f64 v[144:145], v[144:145], v[216:217]
	v_fma_f64 v[112:113], s[14:15], v[150:151], v[116:117]
	v_add_f64 v[114:115], v[114:115], v[122:123]
	v_mul_f64 v[122:123], v[198:199], s[36:37]
	v_fma_f64 v[130:131], v[178:179], s[28:29], -v[126:127]
	v_add_f64 v[138:139], v[138:139], v[144:145]
	v_add_f64 v[114:115], v[112:113], v[114:115]
	v_fma_f64 v[112:113], v[176:177], s[14:15], -v[122:123]
	v_add_f64 v[130:131], v[130:131], v[138:139]
	v_add_f64 v[112:113], v[112:113], v[130:131]
	v_fma_f64 v[130:131], v[164:165], s[24:25], -v[132:133]
	v_fma_f64 v[132:133], v[168:169], s[10:11], -v[136:137]
	v_fma_f64 v[136:137], v[172:173], s[16:17], -v[140:141]
	v_add_f64 v[136:137], v[58:59], v[136:137]
	v_add_f64 v[132:133], v[132:133], v[136:137]
	v_fma_f64 v[128:129], v[160:161], s[22:23], -v[128:129]
	v_add_f64 v[130:131], v[130:131], v[132:133]
	v_fma_f64 v[124:125], v[156:157], s[6:7], -v[124:125]
	;; [unrolled: 2-line block ×5, first 2 shown]
	v_add_f64 v[118:119], v[118:119], v[120:121]
	v_fmac_f64_e32 v[226:227], s[16:17], v[192:193]
	v_add_f64 v[118:119], v[116:117], v[118:119]
	v_fmac_f64_e32 v[222:223], s[10:11], v[190:191]
	;; [unrolled: 2-line block ×3, first 2 shown]
	v_add_f64 v[116:117], v[222:223], v[116:117]
	s_mov_b32 s57, 0x3fe0d888
	s_mov_b32 s56, s30
	v_mul_f64 v[216:217], v[196:197], s[20:21]
	v_fmac_f64_e32 v[146:147], s[22:23], v[184:185]
	v_add_f64 v[116:117], v[218:219], v[116:117]
	v_mul_f64 v[144:145], v[194:195], s[56:57]
	v_fma_f64 v[218:219], s[10:11], v[172:173], v[216:217]
	v_mul_f64 v[234:235], v[212:213], s[20:21]
	v_fmac_f64_e32 v[142:143], s[6:7], v[182:183]
	v_add_f64 v[116:117], v[146:147], v[116:117]
	s_mov_b32 s51, 0xbfeca52d
	s_mov_b32 s50, s36
	v_mul_f64 v[140:141], v[186:187], s[44:45]
	v_fma_f64 v[146:147], s[22:23], v[168:169], v[144:145]
	v_add_f64 v[218:219], v[58:59], v[218:219]
	v_mul_f64 v[230:231], v[210:211], s[56:57]
	v_fma_f64 v[238:239], v[192:193], s[10:11], -v[234:235]
	v_add_f64 v[116:117], v[142:143], v[116:117]
	v_mul_f64 v[136:137], v[174:175], s[50:51]
	v_fma_f64 v[142:143], s[18:19], v[164:165], v[140:141]
	v_add_f64 v[146:147], v[146:147], v[218:219]
	v_mul_f64 v[226:227], v[208:209], s[44:45]
	v_fma_f64 v[232:233], v[190:191], s[22:23], -v[230:231]
	v_add_f64 v[238:239], v[56:57], v[238:239]
	v_fmac_f64_e32 v[134:135], s[18:19], v[180:181]
	v_mul_f64 v[132:133], v[170:171], s[34:35]
	v_fma_f64 v[138:139], s[14:15], v[160:161], v[136:137]
	v_add_f64 v[142:143], v[142:143], v[146:147]
	v_mul_f64 v[222:223], v[206:207], s[50:51]
	v_fma_f64 v[228:229], v[188:189], s[18:19], -v[226:227]
	v_add_f64 v[232:233], v[232:233], v[238:239]
	v_fmac_f64_e32 v[126:127], s[28:29], v[178:179]
	v_add_f64 v[116:117], v[134:135], v[116:117]
	v_mul_f64 v[128:129], v[166:167], s[48:49]
	v_fma_f64 v[134:135], s[28:29], v[156:157], v[132:133]
	v_add_f64 v[138:139], v[138:139], v[142:143]
	v_mul_f64 v[218:219], v[204:205], s[34:35]
	v_fma_f64 v[224:225], v[184:185], s[14:15], -v[222:223]
	v_add_f64 v[228:229], v[228:229], v[232:233]
	v_fmac_f64_e32 v[122:123], s[14:15], v[176:177]
	v_add_f64 v[116:117], v[126:127], v[116:117]
	v_mul_f64 v[126:127], v[162:163], s[40:41]
	v_fma_f64 v[130:131], s[6:7], v[154:155], v[128:129]
	v_add_f64 v[134:135], v[134:135], v[138:139]
	v_mul_f64 v[142:143], v[202:203], s[48:49]
	v_fma_f64 v[220:221], v[182:183], s[28:29], -v[218:219]
	v_add_f64 v[224:225], v[224:225], v[228:229]
	v_add_f64 v[116:117], v[122:123], v[116:117]
	v_mul_f64 v[124:125], v[158:159], s[26:27]
	v_fma_f64 v[122:123], s[24:25], v[152:153], v[126:127]
	v_add_f64 v[130:131], v[130:131], v[134:135]
	v_mul_f64 v[134:135], v[200:201], s[40:41]
	v_fma_f64 v[146:147], v[180:181], s[6:7], -v[142:143]
	v_add_f64 v[220:221], v[220:221], v[224:225]
	v_fma_f64 v[120:121], s[16:17], v[150:151], v[124:125]
	v_add_f64 v[122:123], v[122:123], v[130:131]
	v_mul_f64 v[130:131], v[198:199], s[26:27]
	v_fma_f64 v[138:139], v[178:179], s[24:25], -v[134:135]
	v_add_f64 v[146:147], v[146:147], v[220:221]
	v_add_f64 v[122:123], v[120:121], v[122:123]
	v_fma_f64 v[120:121], v[176:177], s[16:17], -v[130:131]
	v_add_f64 v[138:139], v[138:139], v[146:147]
	v_add_f64 v[120:121], v[120:121], v[138:139]
	v_fma_f64 v[138:139], v[164:165], s[18:19], -v[140:141]
	v_fma_f64 v[140:141], v[168:169], s[22:23], -v[144:145]
	;; [unrolled: 1-line block ×3, first 2 shown]
	v_add_f64 v[144:145], v[58:59], v[144:145]
	v_add_f64 v[140:141], v[140:141], v[144:145]
	v_fma_f64 v[136:137], v[160:161], s[14:15], -v[136:137]
	v_add_f64 v[138:139], v[138:139], v[140:141]
	v_fma_f64 v[132:133], v[156:157], s[28:29], -v[132:133]
	;; [unrolled: 2-line block ×5, first 2 shown]
	v_add_f64 v[126:127], v[126:127], v[128:129]
	v_fmac_f64_e32 v[234:235], s[10:11], v[192:193]
	v_add_f64 v[126:127], v[124:125], v[126:127]
	v_fmac_f64_e32 v[230:231], s[22:23], v[190:191]
	;; [unrolled: 2-line block ×3, first 2 shown]
	v_add_f64 v[124:125], v[230:231], v[124:125]
	v_mul_f64 v[224:225], v[196:197], s[42:43]
	v_fmac_f64_e32 v[222:223], s[14:15], v[184:185]
	v_add_f64 v[124:125], v[226:227], v[124:125]
	v_mul_f64 v[220:221], v[194:195], s[34:35]
	v_fma_f64 v[226:227], s[6:7], v[172:173], v[224:225]
	v_mul_f64 v[244:245], v[212:213], s[42:43]
	v_fmac_f64_e32 v[218:219], s[28:29], v[182:183]
	v_add_f64 v[124:125], v[222:223], v[124:125]
	v_mul_f64 v[216:217], v[186:187], s[52:53]
	v_fma_f64 v[222:223], s[28:29], v[168:169], v[220:221]
	v_add_f64 v[226:227], v[58:59], v[226:227]
	v_mul_f64 v[240:241], v[210:211], s[34:35]
	v_fma_f64 v[246:247], v[192:193], s[6:7], -v[244:245]
	v_add_f64 v[124:125], v[218:219], v[124:125]
	v_mul_f64 v[144:145], v[174:175], s[38:39]
	v_fma_f64 v[218:219], s[10:11], v[164:165], v[216:217]
	v_add_f64 v[222:223], v[222:223], v[226:227]
	v_mul_f64 v[234:235], v[208:209], s[52:53]
	v_fma_f64 v[242:243], v[190:191], s[28:29], -v[240:241]
	v_add_f64 v[246:247], v[56:57], v[246:247]
	v_fmac_f64_e32 v[142:143], s[6:7], v[180:181]
	v_mul_f64 v[140:141], v[170:171], s[50:51]
	v_fma_f64 v[146:147], s[24:25], v[160:161], v[144:145]
	v_add_f64 v[218:219], v[218:219], v[222:223]
	v_mul_f64 v[230:231], v[206:207], s[38:39]
	v_fma_f64 v[238:239], v[188:189], s[10:11], -v[234:235]
	v_add_f64 v[242:243], v[242:243], v[246:247]
	v_fmac_f64_e32 v[134:135], s[24:25], v[178:179]
	v_add_f64 v[124:125], v[142:143], v[124:125]
	v_mul_f64 v[136:137], v[166:167], s[30:31]
	v_fma_f64 v[142:143], s[14:15], v[156:157], v[140:141]
	v_add_f64 v[146:147], v[146:147], v[218:219]
	v_mul_f64 v[226:227], v[204:205], s[50:51]
	v_fma_f64 v[232:233], v[184:185], s[24:25], -v[230:231]
	v_add_f64 v[238:239], v[238:239], v[242:243]
	v_fmac_f64_e32 v[130:131], s[16:17], v[176:177]
	v_add_f64 v[124:125], v[134:135], v[124:125]
	v_mul_f64 v[134:135], v[162:163], s[54:55]
	v_fma_f64 v[138:139], s[22:23], v[154:155], v[136:137]
	v_add_f64 v[142:143], v[142:143], v[146:147]
	v_mul_f64 v[218:219], v[202:203], s[30:31]
	v_fma_f64 v[228:229], v[182:183], s[14:15], -v[226:227]
	v_add_f64 v[232:233], v[232:233], v[238:239]
	v_add_f64 v[124:125], v[130:131], v[124:125]
	v_mul_f64 v[132:133], v[158:159], s[44:45]
	v_fma_f64 v[130:131], s[16:17], v[152:153], v[134:135]
	v_add_f64 v[138:139], v[138:139], v[142:143]
	v_mul_f64 v[142:143], v[200:201], s[54:55]
	v_fma_f64 v[222:223], v[180:181], s[22:23], -v[218:219]
	v_add_f64 v[228:229], v[228:229], v[232:233]
	v_fma_f64 v[128:129], s[18:19], v[150:151], v[132:133]
	v_add_f64 v[130:131], v[130:131], v[138:139]
	v_mul_f64 v[138:139], v[198:199], s[44:45]
	v_fma_f64 v[146:147], v[178:179], s[16:17], -v[142:143]
	v_add_f64 v[222:223], v[222:223], v[228:229]
	v_add_f64 v[130:131], v[128:129], v[130:131]
	v_fma_f64 v[128:129], v[176:177], s[18:19], -v[138:139]
	v_add_f64 v[146:147], v[146:147], v[222:223]
	v_add_f64 v[128:129], v[128:129], v[146:147]
	v_fma_f64 v[146:147], v[164:165], s[10:11], -v[216:217]
	v_fma_f64 v[216:217], v[168:169], s[28:29], -v[220:221]
	;; [unrolled: 1-line block ×3, first 2 shown]
	v_add_f64 v[220:221], v[58:59], v[220:221]
	v_add_f64 v[216:217], v[216:217], v[220:221]
	v_fma_f64 v[144:145], v[160:161], s[24:25], -v[144:145]
	v_add_f64 v[146:147], v[146:147], v[216:217]
	v_fma_f64 v[140:141], v[156:157], s[14:15], -v[140:141]
	;; [unrolled: 2-line block ×5, first 2 shown]
	v_add_f64 v[134:135], v[134:135], v[136:137]
	v_fmac_f64_e32 v[244:245], s[6:7], v[192:193]
	v_add_f64 v[134:135], v[132:133], v[134:135]
	v_fmac_f64_e32 v[240:241], s[28:29], v[190:191]
	;; [unrolled: 2-line block ×3, first 2 shown]
	v_add_f64 v[132:133], v[240:241], v[132:133]
	v_mul_f64 v[232:233], v[196:197], s[50:51]
	v_fmac_f64_e32 v[230:231], s[24:25], v[184:185]
	v_add_f64 v[132:133], v[234:235], v[132:133]
	s_mov_b32 s49, 0x3fc7851a
	s_mov_b32 s48, s34
	v_mul_f64 v[228:229], v[194:195], s[26:27]
	v_fma_f64 v[234:235], s[14:15], v[172:173], v[232:233]
	v_mul_f64 v[252:253], v[212:213], s[50:51]
	v_fmac_f64_e32 v[226:227], s[14:15], v[182:183]
	v_add_f64 v[132:133], v[230:231], v[132:133]
	v_mul_f64 v[224:225], v[186:187], s[48:49]
	v_fma_f64 v[230:231], s[16:17], v[168:169], v[228:229]
	v_add_f64 v[234:235], v[58:59], v[234:235]
	v_mul_f64 v[248:249], v[210:211], s[26:27]
	v_fma_f64 v[254:255], v[192:193], s[14:15], -v[252:253]
	v_add_f64 v[132:133], v[226:227], v[132:133]
	v_mul_f64 v[220:221], v[174:175], s[52:53]
	v_fma_f64 v[226:227], s[28:29], v[164:165], v[224:225]
	v_add_f64 v[230:231], v[230:231], v[234:235]
	v_mul_f64 v[244:245], v[208:209], s[48:49]
	v_fma_f64 v[250:251], v[190:191], s[16:17], -v[248:249]
	v_add_f64 v[254:255], v[56:57], v[254:255]
	v_fmac_f64_e32 v[218:219], s[22:23], v[180:181]
	v_mul_f64 v[216:217], v[170:171], s[44:45]
	v_fma_f64 v[222:223], s[10:11], v[160:161], v[220:221]
	v_add_f64 v[226:227], v[226:227], v[230:231]
	v_mul_f64 v[240:241], v[206:207], s[52:53]
	v_fma_f64 v[246:247], v[188:189], s[28:29], -v[244:245]
	v_add_f64 v[250:251], v[250:251], v[254:255]
	v_fmac_f64_e32 v[142:143], s[16:17], v[178:179]
	v_add_f64 v[132:133], v[218:219], v[132:133]
	v_mul_f64 v[144:145], v[166:167], s[40:41]
	v_fma_f64 v[218:219], s[18:19], v[156:157], v[216:217]
	v_add_f64 v[222:223], v[222:223], v[226:227]
	v_mul_f64 v[234:235], v[204:205], s[44:45]
	v_fma_f64 v[242:243], v[184:185], s[10:11], -v[240:241]
	v_add_f64 v[246:247], v[246:247], v[250:251]
	v_fmac_f64_e32 v[138:139], s[18:19], v[176:177]
	v_add_f64 v[132:133], v[142:143], v[132:133]
	v_mul_f64 v[142:143], v[162:163], s[42:43]
	v_fma_f64 v[146:147], s[24:25], v[154:155], v[144:145]
	v_add_f64 v[218:219], v[218:219], v[222:223]
	v_mul_f64 v[226:227], v[202:203], s[40:41]
	v_fma_f64 v[238:239], v[182:183], s[18:19], -v[234:235]
	v_add_f64 v[242:243], v[242:243], v[246:247]
	v_add_f64 v[132:133], v[138:139], v[132:133]
	v_mul_f64 v[140:141], v[158:159], s[30:31]
	v_fma_f64 v[138:139], s[6:7], v[152:153], v[142:143]
	v_add_f64 v[146:147], v[146:147], v[218:219]
	v_mul_f64 v[222:223], v[200:201], s[42:43]
	v_fma_f64 v[230:231], v[180:181], s[24:25], -v[226:227]
	v_add_f64 v[238:239], v[238:239], v[242:243]
	v_fma_f64 v[136:137], s[22:23], v[150:151], v[140:141]
	v_add_f64 v[138:139], v[138:139], v[146:147]
	v_mul_f64 v[218:219], v[198:199], s[30:31]
	v_fma_f64 v[146:147], v[178:179], s[6:7], -v[222:223]
	v_add_f64 v[230:231], v[230:231], v[238:239]
	v_add_f64 v[138:139], v[136:137], v[138:139]
	v_fma_f64 v[136:137], v[176:177], s[22:23], -v[218:219]
	v_add_f64 v[146:147], v[146:147], v[230:231]
	v_add_f64 v[136:137], v[136:137], v[146:147]
	v_fma_f64 v[146:147], v[156:157], s[18:19], -v[216:217]
	v_fma_f64 v[216:217], v[160:161], s[10:11], -v[220:221]
	;; [unrolled: 1-line block ×5, first 2 shown]
	v_add_f64 v[228:229], v[58:59], v[228:229]
	v_add_f64 v[224:225], v[224:225], v[228:229]
	;; [unrolled: 1-line block ×4, first 2 shown]
	v_fma_f64 v[144:145], v[154:155], s[24:25], -v[144:145]
	v_add_f64 v[146:147], v[146:147], v[216:217]
	v_fma_f64 v[142:143], v[152:153], s[6:7], -v[142:143]
	v_add_f64 v[144:145], v[144:145], v[146:147]
	v_fma_f64 v[140:141], v[150:151], s[22:23], -v[140:141]
	v_add_f64 v[142:143], v[142:143], v[144:145]
	v_fmac_f64_e32 v[252:253], s[14:15], v[192:193]
	v_add_f64 v[146:147], v[140:141], v[142:143]
	v_fmac_f64_e32 v[248:249], s[16:17], v[190:191]
	v_add_f64 v[140:141], v[56:57], v[252:253]
	v_fmac_f64_e32 v[244:245], s[28:29], v[188:189]
	v_add_f64 v[140:141], v[248:249], v[140:141]
	v_mul_f64 v[242:243], v[196:197], s[46:47]
	v_accvgpr_write_b32 a12, v92
	v_fmac_f64_e32 v[240:241], s[10:11], v[184:185]
	v_add_f64 v[140:141], v[244:245], v[140:141]
	v_mul_f64 v[238:239], v[194:195], s[42:43]
	v_fma_f64 v[244:245], s[18:19], v[172:173], v[242:243]
	v_mul_f64 v[2:3], v[212:213], s[46:47]
	v_accvgpr_write_b32 a13, v93
	v_accvgpr_write_b32 a14, v94
	;; [unrolled: 1-line block ×3, first 2 shown]
	v_fmac_f64_e32 v[234:235], s[18:19], v[182:183]
	v_add_f64 v[140:141], v[240:241], v[140:141]
	v_mul_f64 v[232:233], v[186:187], s[26:27]
	v_fma_f64 v[240:241], s[6:7], v[168:169], v[238:239]
	v_add_f64 v[244:245], v[58:59], v[244:245]
	v_accvgpr_write_b32 a0, v236
	v_mul_f64 v[236:237], v[210:211], s[42:43]
	v_fma_f64 v[92:93], v[192:193], s[18:19], -v[2:3]
	v_fmac_f64_e32 v[226:227], s[24:25], v[180:181]
	v_add_f64 v[140:141], v[234:235], v[140:141]
	v_mul_f64 v[228:229], v[174:175], s[34:35]
	v_fma_f64 v[234:235], s[16:17], v[164:165], v[232:233]
	v_add_f64 v[240:241], v[240:241], v[244:245]
	v_mul_f64 v[252:253], v[208:209], s[26:27]
	v_mov_b32_e32 v8, v1
	v_fma_f64 v[0:1], v[190:191], s[6:7], -v[236:237]
	v_add_f64 v[92:93], v[56:57], v[92:93]
	v_fmac_f64_e32 v[222:223], s[6:7], v[178:179]
	v_add_f64 v[140:141], v[226:227], v[140:141]
	v_mul_f64 v[224:225], v[170:171], s[56:57]
	v_fma_f64 v[230:231], s[28:29], v[160:161], v[228:229]
	v_add_f64 v[234:235], v[234:235], v[240:241]
	v_mul_f64 v[248:249], v[206:207], s[34:35]
	v_fma_f64 v[254:255], v[188:189], s[16:17], -v[252:253]
	v_add_f64 v[0:1], v[0:1], v[92:93]
	v_fmac_f64_e32 v[218:219], s[22:23], v[176:177]
	v_add_f64 v[140:141], v[222:223], v[140:141]
	v_mul_f64 v[220:221], v[166:167], s[52:53]
	v_fma_f64 v[226:227], s[22:23], v[156:157], v[224:225]
	v_add_f64 v[230:231], v[230:231], v[234:235]
	v_mul_f64 v[244:245], v[204:205], s[56:57]
	v_fma_f64 v[250:251], v[184:185], s[28:29], -v[248:249]
	v_add_f64 v[0:1], v[254:255], v[0:1]
	v_add_f64 v[144:145], v[218:219], v[140:141]
	v_mul_f64 v[218:219], v[162:163], s[36:37]
	v_fma_f64 v[222:223], s[10:11], v[154:155], v[220:221]
	v_add_f64 v[226:227], v[226:227], v[230:231]
	v_mul_f64 v[234:235], v[202:203], s[52:53]
	v_fma_f64 v[246:247], v[182:183], s[22:23], -v[244:245]
	v_add_f64 v[0:1], v[250:251], v[0:1]
	v_mul_f64 v[216:217], v[158:159], s[38:39]
	v_fma_f64 v[142:143], s[14:15], v[152:153], v[218:219]
	v_add_f64 v[222:223], v[222:223], v[226:227]
	v_mul_f64 v[226:227], v[200:201], s[36:37]
	v_fma_f64 v[240:241], v[180:181], s[10:11], -v[234:235]
	v_add_f64 v[0:1], v[246:247], v[0:1]
	v_fma_f64 v[140:141], s[24:25], v[150:151], v[216:217]
	v_add_f64 v[142:143], v[142:143], v[222:223]
	v_mul_f64 v[222:223], v[198:199], s[38:39]
	v_fma_f64 v[230:231], v[178:179], s[14:15], -v[226:227]
	v_add_f64 v[0:1], v[240:241], v[0:1]
	v_add_f64 v[142:143], v[140:141], v[142:143]
	v_fma_f64 v[140:141], v[176:177], s[24:25], -v[222:223]
	v_add_f64 v[0:1], v[230:231], v[0:1]
	v_fma_f64 v[92:93], v[152:153], s[14:15], -v[218:219]
	v_fma_f64 v[218:219], v[160:161], s[28:29], -v[228:229]
	v_fma_f64 v[228:229], v[172:173], s[18:19], -v[242:243]
	v_add_f64 v[140:141], v[140:141], v[0:1]
	v_fma_f64 v[0:1], v[150:151], s[24:25], -v[216:217]
	v_fma_f64 v[216:217], v[156:157], s[22:23], -v[224:225]
	;; [unrolled: 4-line block ×3, first 2 shown]
	v_add_f64 v[224:225], v[224:225], v[228:229]
	v_add_f64 v[220:221], v[220:221], v[224:225]
	;; [unrolled: 1-line block ×6, first 2 shown]
	v_fmac_f64_e32 v[2:3], s[18:19], v[192:193]
	v_add_f64 v[220:221], v[0:1], v[92:93]
	v_fmac_f64_e32 v[236:237], s[6:7], v[190:191]
	v_add_f64 v[0:1], v[56:57], v[2:3]
	;; [unrolled: 2-line block ×7, first 2 shown]
	v_add_f64 v[0:1], v[226:227], v[0:1]
	v_mul_f64 v[226:227], v[196:197], s[40:41]
	v_mul_f64 v[224:225], v[194:195], s[46:47]
	v_fma_f64 v[196:197], s[24:25], v[172:173], v[226:227]
	v_fmac_f64_e32 v[222:223], s[24:25], v[176:177]
	v_mul_f64 v[186:187], v[186:187], s[50:51]
	v_fma_f64 v[194:195], s[18:19], v[168:169], v[224:225]
	v_add_f64 v[196:197], v[58:59], v[196:197]
	v_add_f64 v[218:219], v[222:223], v[0:1]
	v_mul_f64 v[174:175], v[174:175], s[42:43]
	v_fma_f64 v[222:223], s[14:15], v[164:165], v[186:187]
	v_add_f64 v[194:195], v[194:195], v[196:197]
	v_mul_f64 v[0:1], v[158:159], s[34:35]
	v_mul_f64 v[158:159], v[166:167], s[26:27]
	;; [unrolled: 1-line block ×3, first 2 shown]
	v_fma_f64 v[216:217], s[6:7], v[160:161], v[174:175]
	v_add_f64 v[194:195], v[222:223], v[194:195]
	v_fma_f64 v[170:171], s[10:11], v[156:157], v[166:167]
	v_add_f64 v[194:195], v[216:217], v[194:195]
	v_mul_f64 v[212:213], v[212:213], s[40:41]
	v_mul_f64 v[92:93], v[162:163], s[30:31]
	v_fma_f64 v[162:163], s[16:17], v[154:155], v[158:159]
	v_add_f64 v[170:171], v[170:171], v[194:195]
	v_mul_f64 v[210:211], v[210:211], s[46:47]
	v_fma_f64 v[228:229], v[192:193], s[24:25], -v[212:213]
	v_fma_f64 v[94:95], s[22:23], v[152:153], v[92:93]
	v_add_f64 v[162:163], v[162:163], v[170:171]
	v_mul_f64 v[208:209], v[208:209], s[50:51]
	v_fma_f64 v[222:223], v[190:191], s[18:19], -v[210:211]
	v_add_f64 v[228:229], v[56:57], v[228:229]
	v_add_f64 v[94:95], v[94:95], v[162:163]
	v_mul_f64 v[162:163], v[200:201], s[30:31]
	v_mul_f64 v[200:201], v[204:205], s[20:21]
	;; [unrolled: 1-line block ×3, first 2 shown]
	v_fma_f64 v[216:217], v[188:189], s[14:15], -v[208:209]
	v_add_f64 v[222:223], v[222:223], v[228:229]
	v_fma_f64 v[2:3], s[28:29], v[150:151], v[0:1]
	v_fma_f64 v[206:207], v[184:185], s[6:7], -v[204:205]
	v_add_f64 v[216:217], v[216:217], v[222:223]
	v_add_f64 v[196:197], v[2:3], v[94:95]
	v_mul_f64 v[2:3], v[198:199], s[34:35]
	v_mul_f64 v[198:199], v[202:203], s[26:27]
	v_fma_f64 v[202:203], v[182:183], s[10:11], -v[200:201]
	v_add_f64 v[206:207], v[206:207], v[216:217]
	v_fma_f64 v[194:195], v[180:181], s[16:17], -v[198:199]
	v_add_f64 v[202:203], v[202:203], v[206:207]
	;; [unrolled: 2-line block ×4, first 2 shown]
	v_add_f64 v[194:195], v[94:95], v[170:171]
	v_fma_f64 v[94:95], v[154:155], s[16:17], -v[158:159]
	v_fma_f64 v[158:159], v[172:173], s[24:25], -v[226:227]
	;; [unrolled: 1-line block ×5, first 2 shown]
	v_add_f64 v[158:159], v[58:59], v[158:159]
	v_fma_f64 v[154:155], v[164:165], s[14:15], -v[186:187]
	v_add_f64 v[156:157], v[156:157], v[158:159]
	v_fma_f64 v[92:93], v[152:153], s[22:23], -v[92:93]
	v_fma_f64 v[152:153], v[160:161], s[6:7], -v[174:175]
	v_add_f64 v[154:155], v[154:155], v[156:157]
	v_add_f64 v[152:153], v[152:153], v[154:155]
	;; [unrolled: 1-line block ×5, first 2 shown]
	v_fmac_f64_e32 v[212:213], s[24:25], v[192:193]
	v_add_f64 v[152:153], v[0:1], v[92:93]
	v_fmac_f64_e32 v[210:211], s[18:19], v[190:191]
	v_add_f64 v[0:1], v[56:57], v[212:213]
	;; [unrolled: 2-line block ×8, first 2 shown]
	v_add_f64 v[150:151], v[2:3], v[0:1]
	v_add_f64 v[0:1], v[58:59], v[62:63]
	;; [unrolled: 1-line block ×13, first 2 shown]
	v_accvgpr_read_b32 v23, a19
	v_add_f64 v[0:1], v[12:13], v[0:1]
	v_accvgpr_read_b32 v22, a18
	v_accvgpr_read_b32 v93, a23
	v_add_f64 v[0:1], v[22:23], v[0:1]
	v_accvgpr_read_b32 v92, a22
	v_add_f64 v[0:1], v[92:93], v[0:1]
	v_add_f64 v[2:3], v[6:7], v[0:1]
	;; [unrolled: 1-line block ×14, first 2 shown]
	v_accvgpr_read_b32 v21, a17
	v_accvgpr_read_b32 v20, a16
	v_add_f64 v[0:1], v[10:11], v[0:1]
	v_accvgpr_read_b32 v91, a21
	v_accvgpr_read_b32 v90, a20
	v_add_f64 v[0:1], v[20:21], v[0:1]
	v_add_f64 v[0:1], v[90:91], v[0:1]
	;; [unrolled: 1-line block ×3, first 2 shown]
	v_accvgpr_read_b32 v4, a10
	v_accvgpr_read_b32 v236, a0
	v_lshl_add_u32 v4, v8, 4, v4
	ds_write_b128 v4, v[0:3]
	ds_write_b128 v4, v[150:153] offset:16
	ds_write_b128 v4, v[218:221] offset:32
	;; [unrolled: 1-line block ×16, first 2 shown]
.LBB0_13:
	s_or_b64 exec, exec, s[4:5]
	s_waitcnt lgkmcnt(0)
	s_barrier
	ds_read_b128 v[0:3], v215
	ds_read_b128 v[4:7], v215 offset:272
	ds_read_b128 v[8:11], v215 offset:544
	;; [unrolled: 1-line block ×7, first 2 shown]
	s_waitcnt lgkmcnt(6)
	v_mul_f64 v[60:61], v[42:43], v[6:7]
	v_fmac_f64_e32 v[60:61], v[40:41], v[4:5]
	v_mul_f64 v[4:5], v[42:43], v[4:5]
	v_fma_f64 v[4:5], v[40:41], v[6:7], -v[4:5]
	s_waitcnt lgkmcnt(5)
	v_mul_f64 v[6:7], v[38:39], v[10:11]
	v_fmac_f64_e32 v[6:7], v[36:37], v[8:9]
	v_mul_f64 v[8:9], v[38:39], v[8:9]
	v_fma_f64 v[8:9], v[36:37], v[10:11], -v[8:9]
	;; [unrolled: 5-line block ×5, first 2 shown]
	s_waitcnt lgkmcnt(1)
	v_mul_f64 v[22:23], v[50:51], v[34:35]
	v_mul_f64 v[24:25], v[50:51], v[32:33]
	s_waitcnt lgkmcnt(0)
	v_mul_f64 v[26:27], v[46:47], v[58:59]
	v_mul_f64 v[28:29], v[46:47], v[56:57]
	v_fmac_f64_e32 v[22:23], v[48:49], v[32:33]
	v_fma_f64 v[24:25], v[48:49], v[34:35], -v[24:25]
	v_fmac_f64_e32 v[26:27], v[44:45], v[56:57]
	v_fma_f64 v[28:29], v[44:45], v[58:59], -v[28:29]
	v_add_f64 v[14:15], v[0:1], -v[14:15]
	v_add_f64 v[16:17], v[2:3], -v[16:17]
	;; [unrolled: 1-line block ×8, first 2 shown]
	v_fma_f64 v[0:1], v[0:1], 2.0, -v[14:15]
	v_fma_f64 v[2:3], v[2:3], 2.0, -v[16:17]
	;; [unrolled: 1-line block ×8, first 2 shown]
	v_add_f64 v[32:33], v[0:1], -v[6:7]
	v_add_f64 v[34:35], v[2:3], -v[8:9]
	v_add_f64 v[36:37], v[14:15], v[24:25]
	v_add_f64 v[38:39], v[16:17], -v[22:23]
	v_add_f64 v[22:23], v[30:31], -v[10:11]
	;; [unrolled: 1-line block ×3, first 2 shown]
	v_fma_f64 v[6:7], v[0:1], 2.0, -v[32:33]
	v_fma_f64 v[8:9], v[2:3], 2.0, -v[34:35]
	;; [unrolled: 1-line block ×4, first 2 shown]
	v_add_f64 v[28:29], v[18:19], v[28:29]
	v_add_f64 v[30:31], v[20:21], -v[26:27]
	s_mov_b32 s4, 0x667f3bcd
	v_fma_f64 v[14:15], v[14:15], 2.0, -v[36:37]
	v_fma_f64 v[16:17], v[16:17], 2.0, -v[38:39]
	v_fma_f64 v[12:13], v[18:19], 2.0, -v[28:29]
	v_fma_f64 v[18:19], v[20:21], 2.0, -v[30:31]
	v_add_f64 v[0:1], v[6:7], -v[0:1]
	v_add_f64 v[2:3], v[8:9], -v[2:3]
	s_mov_b32 s5, 0xbfe6a09e
	v_fma_f64 v[4:5], v[6:7], 2.0, -v[0:1]
	v_fma_f64 v[6:7], v[8:9], 2.0, -v[2:3]
	v_fma_f64 v[8:9], s[4:5], v[12:13], v[14:15]
	v_fma_f64 v[10:11], s[4:5], v[18:19], v[16:17]
	s_mov_b32 s7, 0x3fe6a09e
	s_mov_b32 s6, s4
	v_fmac_f64_e32 v[8:9], s[6:7], v[18:19]
	v_fmac_f64_e32 v[10:11], s[4:5], v[12:13]
	v_fma_f64 v[12:13], v[14:15], 2.0, -v[8:9]
	v_fma_f64 v[14:15], v[16:17], 2.0, -v[10:11]
	v_add_f64 v[16:17], v[32:33], v[24:25]
	v_fma_f64 v[24:25], s[6:7], v[28:29], v[36:37]
	v_fma_f64 v[26:27], s[6:7], v[30:31], v[38:39]
	v_add_f64 v[18:19], v[34:35], -v[22:23]
	v_fmac_f64_e32 v[24:25], s[6:7], v[30:31]
	v_fmac_f64_e32 v[26:27], s[4:5], v[28:29]
	v_fma_f64 v[20:21], v[32:33], 2.0, -v[16:17]
	v_fma_f64 v[22:23], v[34:35], 2.0, -v[18:19]
	;; [unrolled: 1-line block ×4, first 2 shown]
	ds_write_b128 v214, v[4:7]
	ds_write_b128 v214, v[12:15] offset:272
	ds_write_b128 v214, v[20:23] offset:544
	;; [unrolled: 1-line block ×7, first 2 shown]
	s_waitcnt lgkmcnt(0)
	s_barrier
	s_and_b64 exec, exec, vcc
	s_cbranch_execz .LBB0_15
; %bb.14:
	global_load_dwordx4 v[2:5], v149, s[8:9]
	v_accvgpr_read_b32 v6, a9
	v_mad_u64_u32 v[10:11], s[4:5], s2, v148, 0
	ds_read_b128 v[6:9], v6
	v_mad_u64_u32 v[12:13], s[6:7], s0, v236, 0
	v_mov_b32_e32 v14, v11
	v_mov_b32_e32 v16, v13
	v_mad_u64_u32 v[14:15], s[2:3], s3, v148, v[14:15]
	v_mov_b32_e32 v0, s12
	v_mov_b32_e32 v1, s13
	;; [unrolled: 3-line block ×3, first 2 shown]
	v_lshl_add_u64 v[0:1], v[10:11], 4, v[0:1]
	s_mov_b32 s4, 0x1e1e1e1e
	v_lshl_add_u64 v[10:11], v[12:13], 4, v[0:1]
	s_mov_b32 s5, 0x3f7e1e1e
	v_accvgpr_read_b32 v17, a8
	v_mad_u64_u32 v[14:15], s[2:3], s0, v17, 0
	v_mov_b32_e32 v16, v15
	v_mad_u64_u32 v[16:17], s[2:3], s1, v17, v[16:17]
	v_mov_b32_e32 v15, v16
	v_lshl_add_u64 v[14:15], v[14:15], 4, v[0:1]
	s_waitcnt vmcnt(0) lgkmcnt(0)
	v_mul_f64 v[12:13], v[8:9], v[4:5]
	v_mul_f64 v[4:5], v[6:7], v[4:5]
	v_fmac_f64_e32 v[12:13], v[6:7], v[2:3]
	v_fma_f64 v[4:5], v[2:3], v[8:9], -v[4:5]
	v_mul_f64 v[2:3], v[12:13], s[4:5]
	v_mul_f64 v[4:5], v[4:5], s[4:5]
	global_store_dwordx4 v[10:11], v[2:5], off
	global_load_dwordx4 v[2:5], v149, s[8:9] offset:128
	ds_read_b128 v[6:9], v214 offset:128
	ds_read_b128 v[10:13], v214 offset:256
	s_waitcnt vmcnt(0) lgkmcnt(1)
	v_mul_f64 v[16:17], v[8:9], v[4:5]
	v_mul_f64 v[4:5], v[6:7], v[4:5]
	v_fmac_f64_e32 v[16:17], v[6:7], v[2:3]
	v_fma_f64 v[4:5], v[2:3], v[8:9], -v[4:5]
	v_mul_f64 v[2:3], v[16:17], s[4:5]
	v_mul_f64 v[4:5], v[4:5], s[4:5]
	global_store_dwordx4 v[14:15], v[2:5], off
	global_load_dwordx4 v[2:5], v149, s[8:9] offset:256
	v_accvgpr_read_b32 v9, a7
	v_mad_u64_u32 v[6:7], s[2:3], s0, v9, 0
	v_mov_b32_e32 v8, v7
	v_mad_u64_u32 v[8:9], s[2:3], s1, v9, v[8:9]
	v_mov_b32_e32 v7, v8
	v_lshl_add_u64 v[6:7], v[6:7], 4, v[0:1]
	v_accvgpr_read_b32 v17, a6
	v_mad_u64_u32 v[14:15], s[2:3], s0, v17, 0
	v_mov_b32_e32 v16, v15
	v_mad_u64_u32 v[16:17], s[2:3], s1, v17, v[16:17]
	v_mov_b32_e32 v15, v16
	v_lshl_add_u64 v[14:15], v[14:15], 4, v[0:1]
	s_waitcnt vmcnt(0) lgkmcnt(0)
	v_mul_f64 v[8:9], v[12:13], v[4:5]
	v_mul_f64 v[4:5], v[10:11], v[4:5]
	v_fmac_f64_e32 v[8:9], v[10:11], v[2:3]
	v_fma_f64 v[4:5], v[2:3], v[12:13], -v[4:5]
	v_mul_f64 v[2:3], v[8:9], s[4:5]
	v_mul_f64 v[4:5], v[4:5], s[4:5]
	global_store_dwordx4 v[6:7], v[2:5], off
	global_load_dwordx4 v[2:5], v149, s[8:9] offset:384
	ds_read_b128 v[6:9], v214 offset:384
	ds_read_b128 v[10:13], v214 offset:512
	s_waitcnt vmcnt(0) lgkmcnt(1)
	v_mul_f64 v[16:17], v[8:9], v[4:5]
	v_mul_f64 v[4:5], v[6:7], v[4:5]
	v_fmac_f64_e32 v[16:17], v[6:7], v[2:3]
	v_fma_f64 v[4:5], v[2:3], v[8:9], -v[4:5]
	v_mul_f64 v[2:3], v[16:17], s[4:5]
	v_mul_f64 v[4:5], v[4:5], s[4:5]
	global_store_dwordx4 v[14:15], v[2:5], off
	global_load_dwordx4 v[2:5], v149, s[8:9] offset:512
	v_accvgpr_read_b32 v9, a5
	v_mad_u64_u32 v[6:7], s[2:3], s0, v9, 0
	v_mov_b32_e32 v8, v7
	v_mad_u64_u32 v[8:9], s[2:3], s1, v9, v[8:9]
	v_mov_b32_e32 v7, v8
	v_lshl_add_u64 v[6:7], v[6:7], 4, v[0:1]
	;; [unrolled: 32-line block ×4, first 2 shown]
	v_or_b32_e32 v17, 0x48, v236
	v_mad_u64_u32 v[14:15], s[2:3], s0, v17, 0
	v_mov_b32_e32 v16, v15
	v_mad_u64_u32 v[16:17], s[2:3], s1, v17, v[16:17]
	v_mov_b32_e32 v15, v16
	v_lshl_add_u64 v[14:15], v[14:15], 4, v[0:1]
	s_waitcnt vmcnt(0) lgkmcnt(0)
	v_mul_f64 v[8:9], v[12:13], v[4:5]
	v_mul_f64 v[4:5], v[10:11], v[4:5]
	v_fmac_f64_e32 v[8:9], v[10:11], v[2:3]
	v_fma_f64 v[4:5], v[2:3], v[12:13], -v[4:5]
	v_mul_f64 v[2:3], v[8:9], s[4:5]
	v_mul_f64 v[4:5], v[4:5], s[4:5]
	global_store_dwordx4 v[6:7], v[2:5], off
	global_load_dwordx4 v[2:5], v149, s[8:9] offset:1152
	ds_read_b128 v[6:9], v214 offset:1152
	ds_read_b128 v[10:13], v214 offset:1280
	s_waitcnt vmcnt(0) lgkmcnt(1)
	v_mul_f64 v[16:17], v[8:9], v[4:5]
	v_mul_f64 v[4:5], v[6:7], v[4:5]
	v_fmac_f64_e32 v[16:17], v[6:7], v[2:3]
	v_fma_f64 v[4:5], v[2:3], v[8:9], -v[4:5]
	v_mul_f64 v[2:3], v[16:17], s[4:5]
	v_mul_f64 v[4:5], v[4:5], s[4:5]
	global_store_dwordx4 v[14:15], v[2:5], off
	global_load_dwordx4 v[2:5], v149, s[8:9] offset:1280
	v_or_b32_e32 v9, 0x50, v236
	v_mad_u64_u32 v[6:7], s[2:3], s0, v9, 0
	v_mov_b32_e32 v8, v7
	v_mad_u64_u32 v[8:9], s[2:3], s1, v9, v[8:9]
	v_mov_b32_e32 v7, v8
	v_lshl_add_u64 v[6:7], v[6:7], 4, v[0:1]
	v_or_b32_e32 v17, 0x58, v236
	v_mad_u64_u32 v[14:15], s[2:3], s0, v17, 0
	v_mov_b32_e32 v16, v15
	v_mad_u64_u32 v[16:17], s[2:3], s1, v17, v[16:17]
	v_mov_b32_e32 v15, v16
	v_lshl_add_u64 v[14:15], v[14:15], 4, v[0:1]
	s_waitcnt vmcnt(0) lgkmcnt(0)
	v_mul_f64 v[8:9], v[12:13], v[4:5]
	v_mul_f64 v[4:5], v[10:11], v[4:5]
	v_fmac_f64_e32 v[8:9], v[10:11], v[2:3]
	v_fma_f64 v[4:5], v[2:3], v[12:13], -v[4:5]
	v_mul_f64 v[2:3], v[8:9], s[4:5]
	v_mul_f64 v[4:5], v[4:5], s[4:5]
	global_store_dwordx4 v[6:7], v[2:5], off
	global_load_dwordx4 v[2:5], v149, s[8:9] offset:1408
	ds_read_b128 v[6:9], v214 offset:1408
	ds_read_b128 v[10:13], v214 offset:1536
	s_waitcnt vmcnt(0) lgkmcnt(1)
	v_mul_f64 v[16:17], v[8:9], v[4:5]
	v_mul_f64 v[4:5], v[6:7], v[4:5]
	v_fmac_f64_e32 v[16:17], v[6:7], v[2:3]
	v_fma_f64 v[4:5], v[2:3], v[8:9], -v[4:5]
	v_mul_f64 v[2:3], v[16:17], s[4:5]
	v_mul_f64 v[4:5], v[4:5], s[4:5]
	global_store_dwordx4 v[14:15], v[2:5], off
	global_load_dwordx4 v[2:5], v149, s[8:9] offset:1536
	v_or_b32_e32 v9, 0x60, v236
	v_mad_u64_u32 v[6:7], s[2:3], s0, v9, 0
	v_mov_b32_e32 v8, v7
	v_mad_u64_u32 v[8:9], s[2:3], s1, v9, v[8:9]
	v_mov_b32_e32 v7, v8
	v_lshl_add_u64 v[6:7], v[6:7], 4, v[0:1]
	;; [unrolled: 32-line block ×4, first 2 shown]
	s_waitcnt vmcnt(0) lgkmcnt(0)
	v_mul_f64 v[8:9], v[12:13], v[4:5]
	v_mul_f64 v[4:5], v[10:11], v[4:5]
	v_fmac_f64_e32 v[8:9], v[10:11], v[2:3]
	v_fma_f64 v[4:5], v[2:3], v[12:13], -v[4:5]
	v_mul_f64 v[2:3], v[8:9], s[4:5]
	v_mul_f64 v[4:5], v[4:5], s[4:5]
	global_store_dwordx4 v[0:1], v[2:5], off
.LBB0_15:
	s_endpgm
	.section	.rodata,"a",@progbits
	.p2align	6, 0x0
	.amdhsa_kernel bluestein_single_back_len136_dim1_dp_op_CI_CI
		.amdhsa_group_segment_fixed_size 15232
		.amdhsa_private_segment_fixed_size 0
		.amdhsa_kernarg_size 104
		.amdhsa_user_sgpr_count 2
		.amdhsa_user_sgpr_dispatch_ptr 0
		.amdhsa_user_sgpr_queue_ptr 0
		.amdhsa_user_sgpr_kernarg_segment_ptr 1
		.amdhsa_user_sgpr_dispatch_id 0
		.amdhsa_user_sgpr_kernarg_preload_length 0
		.amdhsa_user_sgpr_kernarg_preload_offset 0
		.amdhsa_user_sgpr_private_segment_size 0
		.amdhsa_uses_dynamic_stack 0
		.amdhsa_enable_private_segment 0
		.amdhsa_system_sgpr_workgroup_id_x 1
		.amdhsa_system_sgpr_workgroup_id_y 0
		.amdhsa_system_sgpr_workgroup_id_z 0
		.amdhsa_system_sgpr_workgroup_info 0
		.amdhsa_system_vgpr_workitem_id 0
		.amdhsa_next_free_vgpr 386
		.amdhsa_next_free_sgpr 58
		.amdhsa_accum_offset 256
		.amdhsa_reserve_vcc 1
		.amdhsa_float_round_mode_32 0
		.amdhsa_float_round_mode_16_64 0
		.amdhsa_float_denorm_mode_32 3
		.amdhsa_float_denorm_mode_16_64 3
		.amdhsa_dx10_clamp 1
		.amdhsa_ieee_mode 1
		.amdhsa_fp16_overflow 0
		.amdhsa_tg_split 0
		.amdhsa_exception_fp_ieee_invalid_op 0
		.amdhsa_exception_fp_denorm_src 0
		.amdhsa_exception_fp_ieee_div_zero 0
		.amdhsa_exception_fp_ieee_overflow 0
		.amdhsa_exception_fp_ieee_underflow 0
		.amdhsa_exception_fp_ieee_inexact 0
		.amdhsa_exception_int_div_zero 0
	.end_amdhsa_kernel
	.text
.Lfunc_end0:
	.size	bluestein_single_back_len136_dim1_dp_op_CI_CI, .Lfunc_end0-bluestein_single_back_len136_dim1_dp_op_CI_CI
                                        ; -- End function
	.section	.AMDGPU.csdata,"",@progbits
; Kernel info:
; codeLenInByte = 21984
; NumSgprs: 64
; NumVgprs: 256
; NumAgprs: 130
; TotalNumVgprs: 386
; ScratchSize: 0
; MemoryBound: 0
; FloatMode: 240
; IeeeMode: 1
; LDSByteSize: 15232 bytes/workgroup (compile time only)
; SGPRBlocks: 7
; VGPRBlocks: 48
; NumSGPRsForWavesPerEU: 64
; NumVGPRsForWavesPerEU: 386
; AccumOffset: 256
; Occupancy: 1
; WaveLimiterHint : 1
; COMPUTE_PGM_RSRC2:SCRATCH_EN: 0
; COMPUTE_PGM_RSRC2:USER_SGPR: 2
; COMPUTE_PGM_RSRC2:TRAP_HANDLER: 0
; COMPUTE_PGM_RSRC2:TGID_X_EN: 1
; COMPUTE_PGM_RSRC2:TGID_Y_EN: 0
; COMPUTE_PGM_RSRC2:TGID_Z_EN: 0
; COMPUTE_PGM_RSRC2:TIDIG_COMP_CNT: 0
; COMPUTE_PGM_RSRC3_GFX90A:ACCUM_OFFSET: 63
; COMPUTE_PGM_RSRC3_GFX90A:TG_SPLIT: 0
	.text
	.p2alignl 6, 3212836864
	.fill 256, 4, 3212836864
	.type	__hip_cuid_cf63aacf98f82d86,@object ; @__hip_cuid_cf63aacf98f82d86
	.section	.bss,"aw",@nobits
	.globl	__hip_cuid_cf63aacf98f82d86
__hip_cuid_cf63aacf98f82d86:
	.byte	0                               ; 0x0
	.size	__hip_cuid_cf63aacf98f82d86, 1

	.ident	"AMD clang version 19.0.0git (https://github.com/RadeonOpenCompute/llvm-project roc-6.4.0 25133 c7fe45cf4b819c5991fe208aaa96edf142730f1d)"
	.section	".note.GNU-stack","",@progbits
	.addrsig
	.addrsig_sym __hip_cuid_cf63aacf98f82d86
	.amdgpu_metadata
---
amdhsa.kernels:
  - .agpr_count:     130
    .args:
      - .actual_access:  read_only
        .address_space:  global
        .offset:         0
        .size:           8
        .value_kind:     global_buffer
      - .actual_access:  read_only
        .address_space:  global
        .offset:         8
        .size:           8
        .value_kind:     global_buffer
      - .actual_access:  read_only
        .address_space:  global
        .offset:         16
        .size:           8
        .value_kind:     global_buffer
      - .actual_access:  read_only
        .address_space:  global
        .offset:         24
        .size:           8
        .value_kind:     global_buffer
      - .actual_access:  read_only
        .address_space:  global
        .offset:         32
        .size:           8
        .value_kind:     global_buffer
      - .offset:         40
        .size:           8
        .value_kind:     by_value
      - .address_space:  global
        .offset:         48
        .size:           8
        .value_kind:     global_buffer
      - .address_space:  global
        .offset:         56
        .size:           8
        .value_kind:     global_buffer
      - .address_space:  global
        .offset:         64
        .size:           8
        .value_kind:     global_buffer
      - .address_space:  global
        .offset:         72
        .size:           8
        .value_kind:     global_buffer
      - .offset:         80
        .size:           4
        .value_kind:     by_value
      - .address_space:  global
        .offset:         88
        .size:           8
        .value_kind:     global_buffer
      - .address_space:  global
        .offset:         96
        .size:           8
        .value_kind:     global_buffer
    .group_segment_fixed_size: 15232
    .kernarg_segment_align: 8
    .kernarg_segment_size: 104
    .language:       OpenCL C
    .language_version:
      - 2
      - 0
    .max_flat_workgroup_size: 119
    .name:           bluestein_single_back_len136_dim1_dp_op_CI_CI
    .private_segment_fixed_size: 0
    .sgpr_count:     64
    .sgpr_spill_count: 0
    .symbol:         bluestein_single_back_len136_dim1_dp_op_CI_CI.kd
    .uniform_work_group_size: 1
    .uses_dynamic_stack: false
    .vgpr_count:     386
    .vgpr_spill_count: 0
    .wavefront_size: 64
amdhsa.target:   amdgcn-amd-amdhsa--gfx950
amdhsa.version:
  - 1
  - 2
...

	.end_amdgpu_metadata
